;; amdgpu-corpus repo=ggml-org/llama.cpp kind=compiled arch=gfx1250 opt=O3
	.amdgcn_target "amdgcn-amd-amdhsa--gfx1250"
	.amdhsa_code_object_version 6
	.section	.text._ZL18get_batch_pointersPKfPfPS0_PS1_llmmmm,"axG",@progbits,_ZL18get_batch_pointersPKfPfPS0_PS1_llmmmm,comdat
	.globl	_ZL18get_batch_pointersPKfPfPS0_PS1_llmmmm ; -- Begin function _ZL18get_batch_pointersPKfPfPS0_PS1_llmmmm
	.p2align	8
	.type	_ZL18get_batch_pointersPKfPfPS0_PS1_llmmmm,@function
_ZL18get_batch_pointersPKfPfPS0_PS1_llmmmm: ; @_ZL18get_batch_pointersPKfPfPS0_PS1_llmmmm
; %bb.0:
	s_load_b32 s2, s[0:1], 0x5c
	s_bfe_u32 s4, ttmp6, 0x4000c
	s_and_b32 s3, ttmp6, 15
	s_add_co_i32 s21, s4, 1
	s_getreg_b32 s20, hwreg(HW_REG_IB_STS2, 6, 4)
	s_mul_i32 s21, ttmp9, s21
	s_load_b512 s[4:19], s[0:1], 0x0
	s_add_co_i32 s3, s3, s21
	s_wait_kmcnt 0x0
	s_and_b32 s2, s2, 0xffff
	s_cmp_eq_u32 s20, 0
	s_cselect_b32 s3, ttmp9, s3
	s_delay_alu instid0(SALU_CYCLE_1) | instskip(SKIP_1) | instid1(VALU_DEP_1)
	v_mad_u32 v0, s3, s2, v0
	s_mov_b32 s2, exec_lo
	v_ashrrev_i32_e32 v1, 31, v0
	s_delay_alu instid0(VALU_DEP_1)
	v_cmpx_gt_i64_e64 s[14:15], v[0:1]
	s_cbranch_execz .LBB0_6
; %bb.1:
	v_dual_mov_b32 v2, 0 :: v_dual_bitop2_b32 v3, s13, v1 bitop3:0x54
                                        ; implicit-def: $vgpr4_vgpr5
	s_mov_b32 s2, exec_lo
	s_delay_alu instid0(VALU_DEP_1)
	v_cmpx_ne_u64_e32 0, v[2:3]
	s_xor_b32 s3, exec_lo, s2
	s_cbranch_execz .LBB0_3
; %bb.2:
	s_ashr_i32 s14, s13, 31
	s_mov_b32 s29, 0
	s_mov_b32 s15, s14
	v_dual_mov_b32 v9, v2 :: v_dual_ashrrev_i32 v4, 31, v1
	s_add_nc_u64 s[20:21], s[12:13], s[14:15]
	v_dual_mov_b32 v17, v2 :: v_dual_mov_b32 v3, v2
	s_xor_b64 s[20:21], s[20:21], s[14:15]
	s_delay_alu instid0(VALU_DEP_2) | instskip(SKIP_3) | instid1(VALU_DEP_1)
	v_mov_b32_e32 v5, v4
	s_cvt_f32_u32 s2, s20
	s_cvt_f32_u32 s15, s21
	s_sub_nc_u64 s[24:25], 0, s[20:21]
	v_add_nc_u64_e32 v[6:7], v[0:1], v[4:5]
	s_delay_alu instid0(SALU_CYCLE_1) | instskip(SKIP_1) | instid1(SALU_CYCLE_2)
	s_fmamk_f32 s2, s15, 0x4f800000, s2
	v_mov_b32_e32 v11, v2
	v_s_rcp_f32 s2, s2
	s_delay_alu instid0(VALU_DEP_2) | instskip(NEXT) | instid1(VALU_DEP_3)
	v_xor_b32_e32 v8, v6, v4
	v_xor_b32_e32 v10, v7, v4
	;; [unrolled: 1-line block ×3, first 2 shown]
	s_delay_alu instid0(TRANS32_DEP_1) | instskip(NEXT) | instid1(SALU_CYCLE_3)
	s_mul_f32 s2, s2, 0x5f7ffffc
	s_mul_f32 s15, s2, 0x2f800000
	s_delay_alu instid0(SALU_CYCLE_3) | instskip(NEXT) | instid1(SALU_CYCLE_3)
	s_trunc_f32 s15, s15
	s_fmamk_f32 s2, s15, 0xcf800000, s2
	s_cvt_u32_f32 s23, s15
	s_delay_alu instid0(SALU_CYCLE_2) | instskip(NEXT) | instid1(SALU_CYCLE_3)
	s_cvt_u32_f32 s22, s2
	s_mul_u64 s[26:27], s[24:25], s[22:23]
	s_delay_alu instid0(SALU_CYCLE_1)
	s_mul_hi_u32 s31, s22, s27
	s_mul_i32 s30, s22, s27
	s_mul_hi_u32 s28, s22, s26
	s_mul_i32 s15, s23, s26
	s_add_nc_u64 s[30:31], s[28:29], s[30:31]
	s_mul_hi_u32 s2, s23, s26
	s_mul_hi_u32 s33, s23, s27
	s_add_co_u32 s15, s30, s15
	s_add_co_ci_u32 s28, s31, s2
	s_mul_i32 s26, s23, s27
	s_add_co_ci_u32 s27, s33, 0
	s_delay_alu instid0(SALU_CYCLE_1) | instskip(NEXT) | instid1(SALU_CYCLE_1)
	s_add_nc_u64 s[26:27], s[28:29], s[26:27]
	s_add_co_u32 s22, s22, s26
	s_cselect_b32 s2, -1, 0
	s_delay_alu instid0(SALU_CYCLE_1) | instskip(SKIP_1) | instid1(SALU_CYCLE_1)
	s_cmp_lg_u32 s2, 0
	s_add_co_ci_u32 s23, s23, s27
	s_mul_u64 s[24:25], s[24:25], s[22:23]
	s_delay_alu instid0(SALU_CYCLE_1)
	s_mul_hi_u32 s27, s22, s25
	s_mul_i32 s26, s22, s25
	s_mul_hi_u32 s28, s22, s24
	s_mul_i32 s15, s23, s24
	s_add_nc_u64 s[26:27], s[28:29], s[26:27]
	s_mul_hi_u32 s2, s23, s24
	s_mul_hi_u32 s30, s23, s25
	s_add_co_u32 s15, s26, s15
	s_add_co_ci_u32 s28, s27, s2
	s_mul_i32 s24, s23, s25
	s_add_co_ci_u32 s25, s30, 0
	s_delay_alu instid0(SALU_CYCLE_1) | instskip(NEXT) | instid1(SALU_CYCLE_1)
	s_add_nc_u64 s[24:25], s[28:29], s[24:25]
	s_add_co_u32 s2, s22, s24
	s_cselect_b32 s15, -1, 0
	v_mul_hi_u32 v16, v8, s2
	s_cmp_lg_u32 s15, 0
	s_add_co_ci_u32 s28, s23, s25
	s_mov_b64 s[22:23], 0xffffffff
	v_mul_u64_e32 v[12:13], s[28:29], v[8:9]
	s_and_b64 s[22:23], s[2:3], s[22:23]
	v_mul_u64_e32 v[14:15], s[28:29], v[10:11]
	v_mul_u64_e32 v[6:7], s[22:23], v[10:11]
	s_delay_alu instid0(VALU_DEP_3) | instskip(NEXT) | instid1(VALU_DEP_1)
	v_add_nc_u64_e32 v[12:13], v[16:17], v[12:13]
	v_add_co_u32 v2, vcc_lo, v12, v6
	s_delay_alu instid0(VALU_DEP_2) | instskip(SKIP_1) | instid1(VALU_DEP_1)
	v_add_co_ci_u32_e32 v2, vcc_lo, v13, v7, vcc_lo
	v_add_co_ci_u32_e32 v15, vcc_lo, 0, v15, vcc_lo
	v_add_nc_u64_e32 v[2:3], v[2:3], v[14:15]
	s_delay_alu instid0(VALU_DEP_1) | instskip(NEXT) | instid1(VALU_DEP_1)
	v_mul_u64_e32 v[6:7], s[20:21], v[2:3]
	v_sub_nc_u32_e32 v5, v10, v7
	s_delay_alu instid0(VALU_DEP_2) | instskip(NEXT) | instid1(VALU_DEP_1)
	v_sub_co_u32 v6, vcc_lo, v8, v6
	v_sub_co_ci_u32_e64 v10, null, v10, v7, vcc_lo
	s_delay_alu instid0(VALU_DEP_3) | instskip(NEXT) | instid1(VALU_DEP_3)
	v_subrev_co_ci_u32_e64 v5, null, s21, v5, vcc_lo
	v_sub_co_u32 v8, s2, v6, s20
	s_delay_alu instid0(VALU_DEP_1) | instskip(NEXT) | instid1(VALU_DEP_2)
	v_subrev_co_ci_u32_e64 v5, null, 0, v5, s2
	v_cmp_le_u32_e32 vcc_lo, s20, v8
	v_cndmask_b32_e64 v7, 0, -1, vcc_lo
	s_delay_alu instid0(VALU_DEP_3)
	v_cmp_le_u32_e32 vcc_lo, s21, v5
	v_cndmask_b32_e64 v8, 0, -1, vcc_lo
	v_cmp_le_u32_e32 vcc_lo, s20, v6
	v_cndmask_b32_e64 v11, 0, -1, vcc_lo
	;; [unrolled: 2-line block ×3, first 2 shown]
	v_cmp_eq_u32_e32 vcc_lo, s21, v5
	v_cndmask_b32_e32 v5, v8, v7, vcc_lo
	v_cmp_eq_u32_e32 vcc_lo, s21, v10
	v_add_nc_u64_e32 v[6:7], 2, v[2:3]
	v_add_nc_u64_e32 v[8:9], 1, v[2:3]
	v_cndmask_b32_e32 v10, v12, v11, vcc_lo
	v_cmp_ne_u32_e32 vcc_lo, 0, v5
	s_delay_alu instid0(VALU_DEP_2) | instskip(NEXT) | instid1(VALU_DEP_4)
	v_cmp_ne_u32_e64 s2, 0, v10
	v_dual_cndmask_b32 v6, v8, v6 :: v_dual_cndmask_b32 v5, v9, v7
	s_delay_alu instid0(VALU_DEP_1) | instskip(NEXT) | instid1(VALU_DEP_1)
	v_dual_cndmask_b32 v2, v2, v6, s2 :: v_dual_cndmask_b32 v3, v3, v5, s2
	v_dual_mov_b32 v5, v4 :: v_dual_bitop2_b32 v2, v2, v4 bitop3:0x14
	s_delay_alu instid0(VALU_DEP_2) | instskip(NEXT) | instid1(VALU_DEP_1)
	v_xor_b32_e32 v3, v3, v4
	v_sub_nc_u64_e32 v[4:5], v[2:3], v[4:5]
.LBB0_3:
	s_and_not1_saveexec_b32 s2, s3
	s_cbranch_execz .LBB0_5
; %bb.4:
	v_cvt_f32_u32_e32 v2, s12
	s_sub_co_i32 s3, 0, s12
	s_delay_alu instid0(VALU_DEP_1) | instskip(SKIP_1) | instid1(TRANS32_DEP_1)
	v_rcp_iflag_f32_e32 v2, v2
	v_nop
	v_mul_f32_e32 v2, 0x4f7ffffe, v2
	s_delay_alu instid0(VALU_DEP_1) | instskip(NEXT) | instid1(VALU_DEP_1)
	v_cvt_u32_f32_e32 v2, v2
	v_mul_lo_u32 v3, s3, v2
	s_delay_alu instid0(VALU_DEP_1) | instskip(NEXT) | instid1(VALU_DEP_1)
	v_mul_hi_u32 v3, v2, v3
	v_add_nc_u32_e32 v2, v2, v3
	s_delay_alu instid0(VALU_DEP_1) | instskip(NEXT) | instid1(VALU_DEP_1)
	v_mul_hi_u32 v2, v0, v2
	v_mul_lo_u32 v3, v2, s12
	s_delay_alu instid0(VALU_DEP_1) | instskip(NEXT) | instid1(VALU_DEP_1)
	v_dual_add_nc_u32 v4, 1, v2 :: v_dual_sub_nc_u32 v3, v0, v3
	v_subrev_nc_u32_e32 v5, s12, v3
	v_cmp_le_u32_e32 vcc_lo, s12, v3
	s_delay_alu instid0(VALU_DEP_2) | instskip(NEXT) | instid1(VALU_DEP_4)
	v_dual_cndmask_b32 v3, v3, v5, vcc_lo :: v_dual_mov_b32 v5, 0
	v_cndmask_b32_e32 v2, v2, v4, vcc_lo
	s_delay_alu instid0(VALU_DEP_2) | instskip(NEXT) | instid1(VALU_DEP_2)
	v_cmp_le_u32_e32 vcc_lo, s12, v3
	v_add_nc_u32_e32 v4, 1, v2
	s_delay_alu instid0(VALU_DEP_1)
	v_cndmask_b32_e32 v4, v2, v4, vcc_lo
.LBB0_5:
	s_or_b32 exec_lo, exec_lo, s2
	s_delay_alu instid0(VALU_DEP_1) | instskip(SKIP_4) | instid1(VALU_DEP_3)
	v_mul_u64_e32 v[2:3], s[12:13], v[4:5]
	s_load_b128 s[0:3], s[0:1], 0x40
	v_mul_u64_e32 v[6:7], s[18:19], v[4:5]
	s_wait_kmcnt 0x0
	v_mul_u64_e32 v[4:5], s[2:3], v[4:5]
	v_sub_nc_u64_e32 v[2:3], v[0:1], v[2:3]
	v_lshlrev_b64_e32 v[0:1], 3, v[0:1]
	s_delay_alu instid0(VALU_DEP_4) | instskip(NEXT) | instid1(VALU_DEP_3)
	v_lshl_add_u64 v[6:7], v[6:7], 2, s[4:5]
	v_mul_u64_e32 v[8:9], s[16:17], v[2:3]
	v_mul_u64_e32 v[2:3], s[0:1], v[2:3]
	s_delay_alu instid0(VALU_DEP_4) | instskip(SKIP_3) | instid1(VALU_DEP_2)
	v_add_nc_u64_e32 v[10:11], s[8:9], v[0:1]
	v_add_nc_u64_e32 v[0:1], s[10:11], v[0:1]
	v_lshl_add_u64 v[4:5], v[4:5], 2, s[6:7]
	v_lshl_add_u64 v[6:7], v[8:9], 2, v[6:7]
	;; [unrolled: 1-line block ×3, first 2 shown]
	global_store_b64 v[10:11], v[6:7], off
	global_store_b64 v[0:1], v[2:3], off
.LBB0_6:
	s_endpgm
	.section	.rodata,"a",@progbits
	.p2align	6, 0x0
	.amdhsa_kernel _ZL18get_batch_pointersPKfPfPS0_PS1_llmmmm
		.amdhsa_group_segment_fixed_size 0
		.amdhsa_private_segment_fixed_size 0
		.amdhsa_kernarg_size 336
		.amdhsa_user_sgpr_count 2
		.amdhsa_user_sgpr_dispatch_ptr 0
		.amdhsa_user_sgpr_queue_ptr 0
		.amdhsa_user_sgpr_kernarg_segment_ptr 1
		.amdhsa_user_sgpr_dispatch_id 0
		.amdhsa_user_sgpr_kernarg_preload_length 0
		.amdhsa_user_sgpr_kernarg_preload_offset 0
		.amdhsa_user_sgpr_private_segment_size 0
		.amdhsa_wavefront_size32 1
		.amdhsa_uses_dynamic_stack 0
		.amdhsa_enable_private_segment 0
		.amdhsa_system_sgpr_workgroup_id_x 1
		.amdhsa_system_sgpr_workgroup_id_y 0
		.amdhsa_system_sgpr_workgroup_id_z 0
		.amdhsa_system_sgpr_workgroup_info 0
		.amdhsa_system_vgpr_workitem_id 0
		.amdhsa_next_free_vgpr 18
		.amdhsa_next_free_sgpr 34
		.amdhsa_named_barrier_count 0
		.amdhsa_reserve_vcc 1
		.amdhsa_float_round_mode_32 0
		.amdhsa_float_round_mode_16_64 0
		.amdhsa_float_denorm_mode_32 3
		.amdhsa_float_denorm_mode_16_64 3
		.amdhsa_fp16_overflow 0
		.amdhsa_memory_ordered 1
		.amdhsa_forward_progress 1
		.amdhsa_inst_pref_size 8
		.amdhsa_round_robin_scheduling 0
		.amdhsa_exception_fp_ieee_invalid_op 0
		.amdhsa_exception_fp_denorm_src 0
		.amdhsa_exception_fp_ieee_div_zero 0
		.amdhsa_exception_fp_ieee_overflow 0
		.amdhsa_exception_fp_ieee_underflow 0
		.amdhsa_exception_fp_ieee_inexact 0
		.amdhsa_exception_int_div_zero 0
	.end_amdhsa_kernel
	.section	.text._ZL18get_batch_pointersPKfPfPS0_PS1_llmmmm,"axG",@progbits,_ZL18get_batch_pointersPKfPfPS0_PS1_llmmmm,comdat
.Lfunc_end0:
	.size	_ZL18get_batch_pointersPKfPfPS0_PS1_llmmmm, .Lfunc_end0-_ZL18get_batch_pointersPKfPfPS0_PS1_llmmmm
                                        ; -- End function
	.set _ZL18get_batch_pointersPKfPfPS0_PS1_llmmmm.num_vgpr, 18
	.set _ZL18get_batch_pointersPKfPfPS0_PS1_llmmmm.num_agpr, 0
	.set _ZL18get_batch_pointersPKfPfPS0_PS1_llmmmm.numbered_sgpr, 34
	.set _ZL18get_batch_pointersPKfPfPS0_PS1_llmmmm.num_named_barrier, 0
	.set _ZL18get_batch_pointersPKfPfPS0_PS1_llmmmm.private_seg_size, 0
	.set _ZL18get_batch_pointersPKfPfPS0_PS1_llmmmm.uses_vcc, 1
	.set _ZL18get_batch_pointersPKfPfPS0_PS1_llmmmm.uses_flat_scratch, 0
	.set _ZL18get_batch_pointersPKfPfPS0_PS1_llmmmm.has_dyn_sized_stack, 0
	.set _ZL18get_batch_pointersPKfPfPS0_PS1_llmmmm.has_recursion, 0
	.set _ZL18get_batch_pointersPKfPfPS0_PS1_llmmmm.has_indirect_call, 0
	.section	.AMDGPU.csdata,"",@progbits
; Kernel info:
; codeLenInByte = 984
; TotalNumSgprs: 36
; NumVgprs: 18
; ScratchSize: 0
; MemoryBound: 0
; FloatMode: 240
; IeeeMode: 1
; LDSByteSize: 0 bytes/workgroup (compile time only)
; SGPRBlocks: 0
; VGPRBlocks: 1
; NumSGPRsForWavesPerEU: 36
; NumVGPRsForWavesPerEU: 18
; NamedBarCnt: 0
; Occupancy: 16
; WaveLimiterHint : 0
; COMPUTE_PGM_RSRC2:SCRATCH_EN: 0
; COMPUTE_PGM_RSRC2:USER_SGPR: 2
; COMPUTE_PGM_RSRC2:TRAP_HANDLER: 0
; COMPUTE_PGM_RSRC2:TGID_X_EN: 1
; COMPUTE_PGM_RSRC2:TGID_Y_EN: 0
; COMPUTE_PGM_RSRC2:TGID_Z_EN: 0
; COMPUTE_PGM_RSRC2:TIDIG_COMP_CNT: 0
	.section	.text._ZL18solve_tri_f32_fastILi64ELi32EEvPKfS1_Pf15HIP_vector_typeIjLj3EEmmmmmmii,"axG",@progbits,_ZL18solve_tri_f32_fastILi64ELi32EEvPKfS1_Pf15HIP_vector_typeIjLj3EEmmmmmmii,comdat
	.globl	_ZL18solve_tri_f32_fastILi64ELi32EEvPKfS1_Pf15HIP_vector_typeIjLj3EEmmmmmmii ; -- Begin function _ZL18solve_tri_f32_fastILi64ELi32EEvPKfS1_Pf15HIP_vector_typeIjLj3EEmmmmmmii
	.p2align	8
	.type	_ZL18solve_tri_f32_fastILi64ELi32EEvPKfS1_Pf15HIP_vector_typeIjLj3EEmmmmmmii,@function
_ZL18solve_tri_f32_fastILi64ELi32EEvPKfS1_Pf15HIP_vector_typeIjLj3EEmmmmmmii: ; @_ZL18solve_tri_f32_fastILi64ELi32EEvPKfS1_Pf15HIP_vector_typeIjLj3EEmmmmmmii
; %bb.0:
	v_bfe_u32 v1, v0, 10, 10
	s_mov_b32 s2, exec_lo
	s_delay_alu instid0(VALU_DEP_1)
	v_cmpx_gt_u32_e32 32, v1
	s_cbranch_execz .LBB1_269
; %bb.1:
	s_clause 0x2
	s_load_b96 s[12:14], s[0:1], 0x18
	s_load_b32 s15, s[0:1], 0x6c
	s_load_b256 s[4:11], s[0:1], 0x28
	s_bfe_u32 s16, ttmp6, 0x4000c
	s_and_b32 s17, ttmp6, 15
	s_add_co_i32 s16, s16, 1
	s_load_b64 s[2:3], s[0:1], 0x0
	s_mul_i32 s16, ttmp9, s16
	s_getreg_b32 s18, hwreg(HW_REG_IB_STS2, 6, 4)
	s_add_co_i32 s17, s17, s16
	s_cmp_eq_u32 s18, 0
	v_and_b32_e32 v0, 0x3ff, v0
	s_cselect_b32 s16, ttmp9, s17
	s_mov_b32 s73, 0
	s_delay_alu instid0(SALU_CYCLE_1)
	s_mov_b32 s75, s73
	s_wait_kmcnt 0x0
	s_mul_hi_u32 s12, s12, s16
	s_and_b32 s15, s15, 0xffff
	s_add_co_i32 s12, s16, s12
	v_mad_u32_u24 v2, v1, s15, v0
	s_lshr_b32 s74, s12, s13
	s_delay_alu instid0(SALU_CYCLE_1) | instskip(SKIP_4) | instid1(SALU_CYCLE_1)
	s_mul_i32 s12, s74, s14
	s_mul_u64 s[6:7], s[6:7], s[74:75]
	s_sub_co_i32 s72, s16, s12
	v_lshlrev_b32_e32 v3, 2, v2
	s_mul_u64 s[4:5], s[4:5], s[72:73]
	s_lshl_b64 s[4:5], s[4:5], 2
	s_delay_alu instid0(SALU_CYCLE_1) | instskip(SKIP_1) | instid1(SALU_CYCLE_1)
	s_add_nc_u64 s[2:3], s[2:3], s[4:5]
	s_lshl_b64 s[4:5], s[6:7], 2
	s_add_nc_u64 s[2:3], s[2:3], s[4:5]
	s_mov_b32 s4, exec_lo
	v_cmpx_gt_u32_e32 0x1000, v2
	s_cbranch_execz .LBB1_3
; %bb.2:
	global_load_b32 v4, v2, s[2:3] scale_offset
	s_wait_loadcnt 0x0
	ds_store_b32 v3, v4
.LBB1_3:
	s_or_b32 exec_lo, exec_lo, s4
	s_load_b128 s[68:71], s[0:1], 0x48
	s_mov_b32 s4, exec_lo
	v_cmpx_gt_u32_e32 0xc00, v2
	s_cbranch_execz .LBB1_5
; %bb.4:
	global_load_b32 v4, v2, s[2:3] offset:4096 scale_offset
	s_wait_loadcnt 0x0
	ds_store_b32 v3, v4 offset:4096
.LBB1_5:
	s_or_b32 exec_lo, exec_lo, s4
	s_delay_alu instid0(SALU_CYCLE_1)
	s_mov_b32 s4, exec_lo
	v_cmpx_gt_u32_e32 0x800, v2
	s_cbranch_execz .LBB1_7
; %bb.6:
	global_load_b32 v4, v2, s[2:3] offset:8192 scale_offset
	s_wait_loadcnt 0x0
	ds_store_b32 v3, v4 offset:8192
.LBB1_7:
	s_or_b32 exec_lo, exec_lo, s4
	s_load_b64 s[4:5], s[0:1], 0x8
	s_mov_b32 s6, exec_lo
	v_cmpx_gt_u32_e32 0x400, v2
	s_cbranch_execz .LBB1_9
; %bb.8:
	global_load_b32 v2, v2, s[2:3] offset:12288 scale_offset
	s_wait_loadcnt 0x0
	ds_store_b32 v3, v2 offset:12288
.LBB1_9:
	s_or_b32 exec_lo, exec_lo, s6
	s_mul_u64 s[2:3], s[8:9], s[72:73]
	s_mul_u64 s[6:7], s[10:11], s[74:75]
	s_lshl_b64 s[2:3], s[2:3], 2
	v_dual_mov_b32 v10, 0 :: v_dual_lshlrev_b32 v1, 2, v1
	s_wait_kmcnt 0x0
	s_add_nc_u64 s[4:5], s[4:5], s[2:3]
	v_cmp_gt_u32_e64 s2, 64, v0
	v_mov_b32_e32 v9, 0
	s_lshl_b64 s[6:7], s[6:7], 2
	s_wait_dscnt 0x0
	s_add_nc_u64 s[4:5], s[4:5], s[6:7]
	s_barrier_signal -1
	s_barrier_wait -1
	s_and_saveexec_b32 s3, s2
	s_cbranch_execz .LBB1_11
; %bb.10:
	v_lshl_or_b32 v2, v0, 7, v1
	global_load_b32 v9, v2, s[4:5]
.LBB1_11:
	s_wait_xcnt 0x0
	s_or_b32 exec_lo, exec_lo, s3
	v_add_nc_u32_e32 v2, 32, v0
	v_cmp_gt_u32_e64 s3, 32, v0
	s_and_saveexec_b32 s6, s3
	s_cbranch_execz .LBB1_13
; %bb.12:
	v_lshl_or_b32 v3, v2, 7, v1
	global_load_b32 v10, v3, s[4:5]
.LBB1_13:
	s_wait_xcnt 0x0
	s_or_b32 exec_lo, exec_lo, s6
	v_cmp_eq_u32_e64 s4, 0, v0
	s_and_saveexec_b32 s5, s4
	s_cbranch_execz .LBB1_15
; %bb.14:
	v_mov_b32_e32 v3, 0
	ds_load_b32 v3, v3
	s_wait_loadcnt_dscnt 0x0
	v_div_scale_f32 v4, null, v3, v3, v9
	s_delay_alu instid0(VALU_DEP_1) | instskip(SKIP_1) | instid1(TRANS32_DEP_1)
	v_rcp_f32_e32 v5, v4
	v_nop
	v_fma_f32 v6, -v4, v5, 1.0
	s_delay_alu instid0(VALU_DEP_1) | instskip(SKIP_1) | instid1(VALU_DEP_1)
	v_fmac_f32_e32 v5, v6, v5
	v_div_scale_f32 v6, vcc_lo, v9, v3, v9
	v_mul_f32_e32 v7, v6, v5
	s_delay_alu instid0(VALU_DEP_1) | instskip(NEXT) | instid1(VALU_DEP_1)
	v_fma_f32 v8, -v4, v7, v6
	v_fmac_f32_e32 v7, v8, v5
	s_delay_alu instid0(VALU_DEP_1) | instskip(NEXT) | instid1(VALU_DEP_1)
	v_fma_f32 v4, -v4, v7, v6
	v_div_fmas_f32 v4, v4, v5, v7
	s_delay_alu instid0(VALU_DEP_1)
	v_div_fixup_f32 v9, v4, v3, v9
.LBB1_15:
	s_or_b32 exec_lo, exec_lo, s5
	v_dual_mov_b32 v6, 0 :: v_dual_lshlrev_b32 v3, 2, v0
	s_and_saveexec_b32 s5, s4
	s_cbranch_execz .LBB1_17
; %bb.16:
	ds_load_b32 v4, v3 offset:256
	s_wait_loadcnt_dscnt 0x0
	v_fma_f32 v6, v9, v4, 0
.LBB1_17:
	s_or_b32 exec_lo, exec_lo, s5
	v_mbcnt_lo_u32_b32 v8, -1, 0
	v_cmp_eq_u32_e64 s37, 1, v0
	s_delay_alu instid0(VALU_DEP_2) | instskip(SKIP_2) | instid1(VALU_DEP_2)
	v_xor_b32_e32 v5, 8, v8
	v_xor_b32_e32 v4, 16, v8
	;; [unrolled: 1-line block ×3, first 2 shown]
	v_cmp_gt_i32_e32 vcc_lo, 32, v4
	v_cndmask_b32_e32 v4, v8, v4, vcc_lo
	v_cmp_gt_i32_e32 vcc_lo, 32, v5
	v_cndmask_b32_e32 v5, v8, v5, vcc_lo
	s_delay_alu instid0(VALU_DEP_1)
	v_dual_lshlrev_b32 v5, 2, v5 :: v_dual_lshlrev_b32 v4, 2, v4
	ds_bpermute_b32 v7, v4, v6
	s_wait_dscnt 0x0
	v_add_f32_e32 v7, v6, v7
	ds_bpermute_b32 v11, v5, v7
	s_wait_dscnt 0x0
	v_dual_add_f32 v11, v7, v11 :: v_dual_bitop2_b32 v6, 4, v8 bitop3:0x14
	s_delay_alu instid0(VALU_DEP_1) | instskip(SKIP_1) | instid1(VALU_DEP_1)
	v_cmp_gt_i32_e32 vcc_lo, 32, v6
	v_dual_cndmask_b32 v6, v8, v6, vcc_lo :: v_dual_bitop2_b32 v7, 2, v8 bitop3:0x14
	v_cmp_gt_i32_e32 vcc_lo, 32, v7
	s_delay_alu instid0(VALU_DEP_2) | instskip(SKIP_4) | instid1(VALU_DEP_2)
	v_lshlrev_b32_e32 v6, 2, v6
	ds_bpermute_b32 v12, v6, v11
	v_cndmask_b32_e32 v7, v8, v7, vcc_lo
	v_cmp_gt_i32_e32 vcc_lo, 32, v13
	s_wait_dscnt 0x0
	v_dual_add_f32 v11, v11, v12 :: v_dual_lshlrev_b32 v7, 2, v7
	ds_bpermute_b32 v12, v7, v11
	s_wait_dscnt 0x0
	v_dual_cndmask_b32 v8, v8, v13 :: v_dual_add_f32 v11, v11, v12
	s_delay_alu instid0(VALU_DEP_1)
	v_lshlrev_b32_e32 v8, 2, v8
	ds_bpermute_b32 v12, v8, v11
	s_and_saveexec_b32 s5, s37
	s_cbranch_execz .LBB1_19
; %bb.18:
	s_wait_dscnt 0x0
	v_dual_mov_b32 v13, 0 :: v_dual_add_f32 v11, v11, v12
	ds_load_b32 v13, v13 offset:260
	s_wait_loadcnt 0x0
	v_sub_f32_e32 v9, v9, v11
	s_wait_dscnt 0x0
	s_delay_alu instid0(VALU_DEP_1) | instskip(NEXT) | instid1(VALU_DEP_1)
	v_div_scale_f32 v11, null, v13, v13, v9
	v_rcp_f32_e32 v12, v11
	v_nop
	s_delay_alu instid0(TRANS32_DEP_1) | instskip(NEXT) | instid1(VALU_DEP_1)
	v_fma_f32 v14, -v11, v12, 1.0
	v_fmac_f32_e32 v12, v14, v12
	v_div_scale_f32 v14, vcc_lo, v9, v13, v9
	s_delay_alu instid0(VALU_DEP_1) | instskip(NEXT) | instid1(VALU_DEP_1)
	v_mul_f32_e32 v15, v14, v12
	v_fma_f32 v16, -v11, v15, v14
	s_delay_alu instid0(VALU_DEP_1) | instskip(NEXT) | instid1(VALU_DEP_1)
	v_fmac_f32_e32 v15, v16, v12
	v_fma_f32 v11, -v11, v15, v14
	s_delay_alu instid0(VALU_DEP_1) | instskip(NEXT) | instid1(VALU_DEP_1)
	v_div_fmas_f32 v11, v11, v12, v15
	v_div_fixup_f32 v9, v11, v13, v9
.LBB1_19:
	s_or_b32 exec_lo, exec_lo, s5
	v_cmp_gt_u32_e64 s6, 2, v0
	v_mov_b32_e32 v11, 0
	s_and_saveexec_b32 s5, s6
	s_cbranch_execz .LBB1_21
; %bb.20:
	ds_load_b32 v11, v3 offset:512
	s_wait_loadcnt_dscnt 0x0
	v_fma_f32 v11, v9, v11, 0
.LBB1_21:
	s_or_b32 exec_lo, exec_lo, s5
	s_wait_dscnt 0x0
	ds_bpermute_b32 v12, v4, v11
	v_cmp_eq_u32_e64 s38, 2, v0
	s_wait_dscnt 0x0
	v_add_f32_e32 v11, v11, v12
	ds_bpermute_b32 v12, v5, v11
	s_wait_dscnt 0x0
	v_add_f32_e32 v11, v11, v12
	ds_bpermute_b32 v12, v6, v11
	s_wait_dscnt 0x0
	v_add_f32_e32 v11, v11, v12
	ds_bpermute_b32 v12, v7, v11
	s_wait_dscnt 0x0
	v_add_f32_e32 v11, v11, v12
	ds_bpermute_b32 v12, v8, v11
	s_and_saveexec_b32 s5, s38
	s_cbranch_execz .LBB1_23
; %bb.22:
	s_wait_dscnt 0x0
	v_dual_mov_b32 v13, 0 :: v_dual_add_f32 v11, v11, v12
	ds_load_b32 v13, v13 offset:520
	s_wait_loadcnt 0x0
	v_sub_f32_e32 v9, v9, v11
	s_wait_dscnt 0x0
	s_delay_alu instid0(VALU_DEP_1) | instskip(NEXT) | instid1(VALU_DEP_1)
	v_div_scale_f32 v11, null, v13, v13, v9
	v_rcp_f32_e32 v12, v11
	v_nop
	s_delay_alu instid0(TRANS32_DEP_1) | instskip(NEXT) | instid1(VALU_DEP_1)
	v_fma_f32 v14, -v11, v12, 1.0
	v_fmac_f32_e32 v12, v14, v12
	v_div_scale_f32 v14, vcc_lo, v9, v13, v9
	s_delay_alu instid0(VALU_DEP_1) | instskip(NEXT) | instid1(VALU_DEP_1)
	v_mul_f32_e32 v15, v14, v12
	v_fma_f32 v16, -v11, v15, v14
	s_delay_alu instid0(VALU_DEP_1) | instskip(NEXT) | instid1(VALU_DEP_1)
	v_fmac_f32_e32 v15, v16, v12
	v_fma_f32 v11, -v11, v15, v14
	s_delay_alu instid0(VALU_DEP_1) | instskip(NEXT) | instid1(VALU_DEP_1)
	v_div_fmas_f32 v11, v11, v12, v15
	v_div_fixup_f32 v9, v11, v13, v9
.LBB1_23:
	s_or_b32 exec_lo, exec_lo, s5
	v_cmp_gt_u32_e64 s7, 3, v0
	v_mov_b32_e32 v11, 0
	s_and_saveexec_b32 s5, s7
	s_cbranch_execz .LBB1_25
; %bb.24:
	ds_load_b32 v11, v3 offset:768
	s_wait_loadcnt_dscnt 0x0
	v_fma_f32 v11, v9, v11, 0
.LBB1_25:
	s_or_b32 exec_lo, exec_lo, s5
	s_wait_dscnt 0x0
	ds_bpermute_b32 v12, v4, v11
	v_cmp_eq_u32_e64 s39, 3, v0
	s_wait_dscnt 0x0
	v_add_f32_e32 v11, v11, v12
	ds_bpermute_b32 v12, v5, v11
	s_wait_dscnt 0x0
	v_add_f32_e32 v11, v11, v12
	ds_bpermute_b32 v12, v6, v11
	s_wait_dscnt 0x0
	v_add_f32_e32 v11, v11, v12
	ds_bpermute_b32 v12, v7, v11
	s_wait_dscnt 0x0
	v_add_f32_e32 v11, v11, v12
	;; [unrolled: 53-line block ×30, first 2 shown]
	ds_bpermute_b32 v12, v8, v11
	s_and_saveexec_b32 s67, s5
	s_cbranch_execz .LBB1_139
; %bb.138:
	s_wait_dscnt 0x0
	v_dual_mov_b32 v13, 0 :: v_dual_add_f32 v11, v11, v12
	ds_load_b32 v13, v13 offset:8060
	s_wait_loadcnt 0x0
	v_sub_f32_e32 v9, v9, v11
	s_wait_dscnt 0x0
	s_delay_alu instid0(VALU_DEP_1) | instskip(NEXT) | instid1(VALU_DEP_1)
	v_div_scale_f32 v11, null, v13, v13, v9
	v_rcp_f32_e32 v12, v11
	v_nop
	s_delay_alu instid0(TRANS32_DEP_1) | instskip(NEXT) | instid1(VALU_DEP_1)
	v_fma_f32 v14, -v11, v12, 1.0
	v_fmac_f32_e32 v12, v14, v12
	v_div_scale_f32 v14, vcc_lo, v9, v13, v9
	s_delay_alu instid0(VALU_DEP_1) | instskip(NEXT) | instid1(VALU_DEP_1)
	v_mul_f32_e32 v15, v14, v12
	v_fma_f32 v16, -v11, v15, v14
	s_delay_alu instid0(VALU_DEP_1) | instskip(NEXT) | instid1(VALU_DEP_1)
	v_fmac_f32_e32 v15, v16, v12
	v_fma_f32 v11, -v11, v15, v14
	s_delay_alu instid0(VALU_DEP_1) | instskip(NEXT) | instid1(VALU_DEP_1)
	v_div_fmas_f32 v11, v11, v12, v15
	v_div_fixup_f32 v9, v11, v13, v9
.LBB1_139:
	s_or_b32 exec_lo, exec_lo, s67
	ds_load_b32 v11, v3 offset:8192
	s_wait_loadcnt_dscnt 0x0
	v_mul_f32_e32 v12, v9, v11
	ds_bpermute_b32 v12, v4, v12
	s_wait_dscnt 0x0
	v_fmac_f32_e32 v12, v9, v11
	ds_bpermute_b32 v11, v5, v12
	s_wait_dscnt 0x0
	v_add_f32_e32 v11, v12, v11
	ds_bpermute_b32 v12, v6, v11
	s_wait_dscnt 0x0
	v_add_f32_e32 v11, v11, v12
	ds_bpermute_b32 v12, v7, v11
	s_wait_dscnt 0x0
	v_add_f32_e32 v11, v11, v12
	ds_bpermute_b32 v12, v8, v11
	s_and_saveexec_b32 s67, s4
	s_cbranch_execz .LBB1_141
; %bb.140:
	s_wait_dscnt 0x0
	v_dual_mov_b32 v13, 0 :: v_dual_add_f32 v11, v11, v12
	ds_load_b32 v13, v13 offset:8320
	v_sub_f32_e32 v10, v10, v11
	s_wait_dscnt 0x0
	s_delay_alu instid0(VALU_DEP_1) | instskip(NEXT) | instid1(VALU_DEP_1)
	v_div_scale_f32 v11, null, v13, v13, v10
	v_rcp_f32_e32 v12, v11
	v_nop
	s_delay_alu instid0(TRANS32_DEP_1) | instskip(NEXT) | instid1(VALU_DEP_1)
	v_fma_f32 v14, -v11, v12, 1.0
	v_fmac_f32_e32 v12, v14, v12
	v_div_scale_f32 v14, vcc_lo, v10, v13, v10
	s_delay_alu instid0(VALU_DEP_1) | instskip(NEXT) | instid1(VALU_DEP_1)
	v_mul_f32_e32 v15, v14, v12
	v_fma_f32 v16, -v11, v15, v14
	s_delay_alu instid0(VALU_DEP_1) | instskip(NEXT) | instid1(VALU_DEP_1)
	v_fmac_f32_e32 v15, v16, v12
	v_fma_f32 v11, -v11, v15, v14
	s_delay_alu instid0(VALU_DEP_1) | instskip(NEXT) | instid1(VALU_DEP_1)
	v_div_fmas_f32 v11, v11, v12, v15
	v_div_fixup_f32 v10, v11, v13, v10
.LBB1_141:
	s_or_b32 exec_lo, exec_lo, s67
	ds_load_b32 v11, v3 offset:8448
	s_wait_dscnt 0x0
	v_mul_f32_e32 v11, v9, v11
	s_and_saveexec_b32 s67, s4
	s_cbranch_execz .LBB1_143
; %bb.142:
	ds_load_b32 v12, v3 offset:8576
	s_wait_dscnt 0x0
	v_fmac_f32_e32 v11, v10, v12
.LBB1_143:
	s_or_b32 exec_lo, exec_lo, s67
	ds_bpermute_b32 v12, v4, v11
	s_wait_dscnt 0x0
	v_add_f32_e32 v11, v11, v12
	ds_bpermute_b32 v12, v5, v11
	s_wait_dscnt 0x0
	v_add_f32_e32 v11, v11, v12
	ds_bpermute_b32 v12, v6, v11
	s_wait_dscnt 0x0
	v_add_f32_e32 v11, v11, v12
	ds_bpermute_b32 v12, v7, v11
	s_wait_dscnt 0x0
	v_add_f32_e32 v11, v11, v12
	ds_bpermute_b32 v12, v8, v11
	s_and_saveexec_b32 s4, s37
	s_cbranch_execz .LBB1_145
; %bb.144:
	s_wait_dscnt 0x0
	v_dual_mov_b32 v13, 0 :: v_dual_add_f32 v11, v11, v12
	ds_load_b32 v13, v13 offset:8580
	v_sub_f32_e32 v10, v10, v11
	s_wait_dscnt 0x0
	s_delay_alu instid0(VALU_DEP_1) | instskip(NEXT) | instid1(VALU_DEP_1)
	v_div_scale_f32 v11, null, v13, v13, v10
	v_rcp_f32_e32 v12, v11
	v_nop
	s_delay_alu instid0(TRANS32_DEP_1) | instskip(NEXT) | instid1(VALU_DEP_1)
	v_fma_f32 v14, -v11, v12, 1.0
	v_fmac_f32_e32 v12, v14, v12
	v_div_scale_f32 v14, vcc_lo, v10, v13, v10
	s_delay_alu instid0(VALU_DEP_1) | instskip(NEXT) | instid1(VALU_DEP_1)
	v_mul_f32_e32 v15, v14, v12
	v_fma_f32 v16, -v11, v15, v14
	s_delay_alu instid0(VALU_DEP_1) | instskip(NEXT) | instid1(VALU_DEP_1)
	v_fmac_f32_e32 v15, v16, v12
	v_fma_f32 v11, -v11, v15, v14
	s_delay_alu instid0(VALU_DEP_1) | instskip(NEXT) | instid1(VALU_DEP_1)
	v_div_fmas_f32 v11, v11, v12, v15
	v_div_fixup_f32 v10, v11, v13, v10
.LBB1_145:
	s_or_b32 exec_lo, exec_lo, s4
	ds_load_b32 v11, v3 offset:8704
	s_wait_dscnt 0x0
	v_mul_f32_e32 v11, v9, v11
	s_and_saveexec_b32 s4, s6
	s_cbranch_execz .LBB1_147
; %bb.146:
	ds_load_b32 v12, v3 offset:8832
	s_wait_dscnt 0x0
	v_fmac_f32_e32 v11, v10, v12
.LBB1_147:
	s_or_b32 exec_lo, exec_lo, s4
	ds_bpermute_b32 v12, v4, v11
	s_wait_dscnt 0x0
	v_add_f32_e32 v11, v11, v12
	;; [unrolled: 51-line block ×30, first 2 shown]
	ds_bpermute_b32 v12, v5, v11
	s_wait_dscnt 0x0
	v_add_f32_e32 v11, v11, v12
	ds_bpermute_b32 v12, v6, v11
	s_wait_dscnt 0x0
	v_add_f32_e32 v11, v11, v12
	;; [unrolled: 3-line block ×3, first 2 shown]
	ds_bpermute_b32 v12, v8, v11
	s_and_saveexec_b32 s4, s66
	s_cbranch_execz .LBB1_261
; %bb.260:
	s_wait_dscnt 0x0
	v_dual_mov_b32 v13, 0 :: v_dual_add_f32 v11, v11, v12
	ds_load_b32 v13, v13 offset:16120
	v_sub_f32_e32 v10, v10, v11
	s_wait_dscnt 0x0
	s_delay_alu instid0(VALU_DEP_1) | instskip(NEXT) | instid1(VALU_DEP_1)
	v_div_scale_f32 v11, null, v13, v13, v10
	v_rcp_f32_e32 v12, v11
	v_nop
	s_delay_alu instid0(TRANS32_DEP_1) | instskip(NEXT) | instid1(VALU_DEP_1)
	v_fma_f32 v14, -v11, v12, 1.0
	v_fmac_f32_e32 v12, v14, v12
	v_div_scale_f32 v14, vcc_lo, v10, v13, v10
	s_delay_alu instid0(VALU_DEP_1) | instskip(NEXT) | instid1(VALU_DEP_1)
	v_mul_f32_e32 v15, v14, v12
	v_fma_f32 v16, -v11, v15, v14
	s_delay_alu instid0(VALU_DEP_1) | instskip(NEXT) | instid1(VALU_DEP_1)
	v_fmac_f32_e32 v15, v16, v12
	v_fma_f32 v11, -v11, v15, v14
	s_delay_alu instid0(VALU_DEP_1) | instskip(NEXT) | instid1(VALU_DEP_1)
	v_div_fmas_f32 v11, v11, v12, v15
	v_div_fixup_f32 v10, v11, v13, v10
.LBB1_261:
	s_or_b32 exec_lo, exec_lo, s4
	ds_load_b32 v11, v3 offset:16128
	s_wait_dscnt 0x0
	v_mul_f32_e32 v11, v9, v11
	s_and_saveexec_b32 s4, s36
	s_cbranch_execz .LBB1_263
; %bb.262:
	ds_load_b32 v3, v3 offset:16256
	s_wait_dscnt 0x0
	v_fmac_f32_e32 v11, v10, v3
.LBB1_263:
	s_or_b32 exec_lo, exec_lo, s4
	ds_bpermute_b32 v3, v4, v11
	s_load_b64 s[0:1], s[0:1], 0x10
	s_wait_dscnt 0x0
	v_add_f32_e32 v3, v11, v3
	ds_bpermute_b32 v4, v5, v3
	s_wait_dscnt 0x0
	v_add_f32_e32 v3, v3, v4
	ds_bpermute_b32 v4, v6, v3
	;; [unrolled: 3-line block ×4, first 2 shown]
	s_and_saveexec_b32 s4, s5
	s_cbranch_execz .LBB1_265
; %bb.264:
	s_wait_dscnt 0x0
	v_dual_mov_b32 v5, 0 :: v_dual_add_f32 v3, v3, v4
	ds_load_b32 v5, v5 offset:16380
	v_sub_f32_e32 v3, v10, v3
	s_wait_dscnt 0x0
	s_delay_alu instid0(VALU_DEP_1) | instskip(NEXT) | instid1(VALU_DEP_1)
	v_div_scale_f32 v4, null, v5, v5, v3
	v_rcp_f32_e32 v6, v4
	v_nop
	s_delay_alu instid0(TRANS32_DEP_1) | instskip(NEXT) | instid1(VALU_DEP_1)
	v_fma_f32 v7, -v4, v6, 1.0
	v_fmac_f32_e32 v6, v7, v6
	v_div_scale_f32 v7, vcc_lo, v3, v5, v3
	s_delay_alu instid0(VALU_DEP_1) | instskip(NEXT) | instid1(VALU_DEP_1)
	v_mul_f32_e32 v8, v7, v6
	v_fma_f32 v10, -v4, v8, v7
	s_delay_alu instid0(VALU_DEP_1) | instskip(NEXT) | instid1(VALU_DEP_1)
	v_fmac_f32_e32 v8, v10, v6
	v_fma_f32 v4, -v4, v8, v7
	s_delay_alu instid0(VALU_DEP_1) | instskip(NEXT) | instid1(VALU_DEP_1)
	v_div_fmas_f32 v4, v4, v6, v8
	v_div_fixup_f32 v10, v4, v5, v3
.LBB1_265:
	s_or_b32 exec_lo, exec_lo, s4
	s_mul_u64 s[4:5], s[68:69], s[72:73]
	s_mul_u64 s[6:7], s[70:71], s[74:75]
	s_lshl_b64 s[4:5], s[4:5], 2
	s_wait_kmcnt 0x0
	s_add_nc_u64 s[0:1], s[0:1], s[4:5]
	s_lshl_b64 s[4:5], s[6:7], 2
	s_delay_alu instid0(SALU_CYCLE_1)
	s_add_nc_u64 s[0:1], s[0:1], s[4:5]
	s_and_saveexec_b32 s4, s2
	s_cbranch_execz .LBB1_267
; %bb.266:
	v_lshl_or_b32 v0, v0, 7, v1
	v_cndmask_b32_e64 v3, v10, v9, s3
	global_store_b32 v0, v3, s[0:1]
.LBB1_267:
	s_wait_xcnt 0x0
	s_or_b32 exec_lo, exec_lo, s4
	s_delay_alu instid0(SALU_CYCLE_1)
	s_and_b32 exec_lo, exec_lo, s3
	s_cbranch_execz .LBB1_269
; %bb.268:
	v_lshl_or_b32 v0, v2, 7, v1
	global_store_b32 v0, v10, s[0:1]
.LBB1_269:
	s_endpgm
	.section	.rodata,"a",@progbits
	.p2align	6, 0x0
	.amdhsa_kernel _ZL18solve_tri_f32_fastILi64ELi32EEvPKfS1_Pf15HIP_vector_typeIjLj3EEmmmmmmii
		.amdhsa_group_segment_fixed_size 16384
		.amdhsa_private_segment_fixed_size 0
		.amdhsa_kernarg_size 352
		.amdhsa_user_sgpr_count 2
		.amdhsa_user_sgpr_dispatch_ptr 0
		.amdhsa_user_sgpr_queue_ptr 0
		.amdhsa_user_sgpr_kernarg_segment_ptr 1
		.amdhsa_user_sgpr_dispatch_id 0
		.amdhsa_user_sgpr_kernarg_preload_length 0
		.amdhsa_user_sgpr_kernarg_preload_offset 0
		.amdhsa_user_sgpr_private_segment_size 0
		.amdhsa_wavefront_size32 1
		.amdhsa_uses_dynamic_stack 0
		.amdhsa_enable_private_segment 0
		.amdhsa_system_sgpr_workgroup_id_x 1
		.amdhsa_system_sgpr_workgroup_id_y 0
		.amdhsa_system_sgpr_workgroup_id_z 0
		.amdhsa_system_sgpr_workgroup_info 0
		.amdhsa_system_vgpr_workitem_id 1
		.amdhsa_next_free_vgpr 17
		.amdhsa_next_free_sgpr 76
		.amdhsa_named_barrier_count 0
		.amdhsa_reserve_vcc 1
		.amdhsa_float_round_mode_32 0
		.amdhsa_float_round_mode_16_64 0
		.amdhsa_float_denorm_mode_32 3
		.amdhsa_float_denorm_mode_16_64 3
		.amdhsa_fp16_overflow 0
		.amdhsa_memory_ordered 1
		.amdhsa_forward_progress 1
		.amdhsa_inst_pref_size 137
		.amdhsa_round_robin_scheduling 0
		.amdhsa_exception_fp_ieee_invalid_op 0
		.amdhsa_exception_fp_denorm_src 0
		.amdhsa_exception_fp_ieee_div_zero 0
		.amdhsa_exception_fp_ieee_overflow 0
		.amdhsa_exception_fp_ieee_underflow 0
		.amdhsa_exception_fp_ieee_inexact 0
		.amdhsa_exception_int_div_zero 0
	.end_amdhsa_kernel
	.section	.text._ZL18solve_tri_f32_fastILi64ELi32EEvPKfS1_Pf15HIP_vector_typeIjLj3EEmmmmmmii,"axG",@progbits,_ZL18solve_tri_f32_fastILi64ELi32EEvPKfS1_Pf15HIP_vector_typeIjLj3EEmmmmmmii,comdat
.Lfunc_end1:
	.size	_ZL18solve_tri_f32_fastILi64ELi32EEvPKfS1_Pf15HIP_vector_typeIjLj3EEmmmmmmii, .Lfunc_end1-_ZL18solve_tri_f32_fastILi64ELi32EEvPKfS1_Pf15HIP_vector_typeIjLj3EEmmmmmmii
                                        ; -- End function
	.set _ZL18solve_tri_f32_fastILi64ELi32EEvPKfS1_Pf15HIP_vector_typeIjLj3EEmmmmmmii.num_vgpr, 17
	.set _ZL18solve_tri_f32_fastILi64ELi32EEvPKfS1_Pf15HIP_vector_typeIjLj3EEmmmmmmii.num_agpr, 0
	.set _ZL18solve_tri_f32_fastILi64ELi32EEvPKfS1_Pf15HIP_vector_typeIjLj3EEmmmmmmii.numbered_sgpr, 76
	.set _ZL18solve_tri_f32_fastILi64ELi32EEvPKfS1_Pf15HIP_vector_typeIjLj3EEmmmmmmii.num_named_barrier, 0
	.set _ZL18solve_tri_f32_fastILi64ELi32EEvPKfS1_Pf15HIP_vector_typeIjLj3EEmmmmmmii.private_seg_size, 0
	.set _ZL18solve_tri_f32_fastILi64ELi32EEvPKfS1_Pf15HIP_vector_typeIjLj3EEmmmmmmii.uses_vcc, 1
	.set _ZL18solve_tri_f32_fastILi64ELi32EEvPKfS1_Pf15HIP_vector_typeIjLj3EEmmmmmmii.uses_flat_scratch, 0
	.set _ZL18solve_tri_f32_fastILi64ELi32EEvPKfS1_Pf15HIP_vector_typeIjLj3EEmmmmmmii.has_dyn_sized_stack, 0
	.set _ZL18solve_tri_f32_fastILi64ELi32EEvPKfS1_Pf15HIP_vector_typeIjLj3EEmmmmmmii.has_recursion, 0
	.set _ZL18solve_tri_f32_fastILi64ELi32EEvPKfS1_Pf15HIP_vector_typeIjLj3EEmmmmmmii.has_indirect_call, 0
	.section	.AMDGPU.csdata,"",@progbits
; Kernel info:
; codeLenInByte = 17496
; TotalNumSgprs: 78
; NumVgprs: 17
; ScratchSize: 0
; MemoryBound: 0
; FloatMode: 240
; IeeeMode: 1
; LDSByteSize: 16384 bytes/workgroup (compile time only)
; SGPRBlocks: 0
; VGPRBlocks: 1
; NumSGPRsForWavesPerEU: 78
; NumVGPRsForWavesPerEU: 17
; NamedBarCnt: 0
; Occupancy: 16
; WaveLimiterHint : 0
; COMPUTE_PGM_RSRC2:SCRATCH_EN: 0
; COMPUTE_PGM_RSRC2:USER_SGPR: 2
; COMPUTE_PGM_RSRC2:TRAP_HANDLER: 0
; COMPUTE_PGM_RSRC2:TGID_X_EN: 1
; COMPUTE_PGM_RSRC2:TGID_Y_EN: 0
; COMPUTE_PGM_RSRC2:TGID_Z_EN: 0
; COMPUTE_PGM_RSRC2:TIDIG_COMP_CNT: 1
	.section	.text._ZL18solve_tri_f32_fastILi64ELi16EEvPKfS1_Pf15HIP_vector_typeIjLj3EEmmmmmmii,"axG",@progbits,_ZL18solve_tri_f32_fastILi64ELi16EEvPKfS1_Pf15HIP_vector_typeIjLj3EEmmmmmmii,comdat
	.globl	_ZL18solve_tri_f32_fastILi64ELi16EEvPKfS1_Pf15HIP_vector_typeIjLj3EEmmmmmmii ; -- Begin function _ZL18solve_tri_f32_fastILi64ELi16EEvPKfS1_Pf15HIP_vector_typeIjLj3EEmmmmmmii
	.p2align	8
	.type	_ZL18solve_tri_f32_fastILi64ELi16EEvPKfS1_Pf15HIP_vector_typeIjLj3EEmmmmmmii,@function
_ZL18solve_tri_f32_fastILi64ELi16EEvPKfS1_Pf15HIP_vector_typeIjLj3EEmmmmmmii: ; @_ZL18solve_tri_f32_fastILi64ELi16EEvPKfS1_Pf15HIP_vector_typeIjLj3EEmmmmmmii
; %bb.0:
	v_bfe_u32 v1, v0, 10, 10
	s_mov_b32 s2, exec_lo
	s_delay_alu instid0(VALU_DEP_1)
	v_cmpx_gt_u32_e32 16, v1
	s_cbranch_execz .LBB2_277
; %bb.1:
	s_clause 0x2
	s_load_b96 s[12:14], s[0:1], 0x18
	s_load_b32 s15, s[0:1], 0x6c
	s_load_b256 s[4:11], s[0:1], 0x28
	s_bfe_u32 s16, ttmp6, 0x4000c
	s_and_b32 s17, ttmp6, 15
	s_add_co_i32 s16, s16, 1
	s_load_b64 s[2:3], s[0:1], 0x0
	s_mul_i32 s16, ttmp9, s16
	s_getreg_b32 s18, hwreg(HW_REG_IB_STS2, 6, 4)
	s_add_co_i32 s17, s17, s16
	s_cmp_eq_u32 s18, 0
	v_and_b32_e32 v0, 0x3ff, v0
	s_cselect_b32 s16, ttmp9, s17
	s_mov_b32 s73, 0
	s_delay_alu instid0(SALU_CYCLE_1)
	s_mov_b32 s75, s73
	s_wait_kmcnt 0x0
	s_mul_hi_u32 s12, s12, s16
	s_and_b32 s15, s15, 0xffff
	s_add_co_i32 s12, s16, s12
	v_mad_u32_u24 v2, v1, s15, v0
	s_lshr_b32 s74, s12, s13
	s_delay_alu instid0(SALU_CYCLE_1) | instskip(SKIP_4) | instid1(SALU_CYCLE_1)
	s_mul_i32 s12, s74, s14
	s_mul_u64 s[6:7], s[6:7], s[74:75]
	s_sub_co_i32 s72, s16, s12
	v_lshlrev_b32_e32 v3, 2, v2
	s_mul_u64 s[4:5], s[4:5], s[72:73]
	s_lshl_b64 s[4:5], s[4:5], 2
	s_delay_alu instid0(SALU_CYCLE_1) | instskip(SKIP_1) | instid1(SALU_CYCLE_1)
	s_add_nc_u64 s[2:3], s[2:3], s[4:5]
	s_lshl_b64 s[4:5], s[6:7], 2
	s_add_nc_u64 s[2:3], s[2:3], s[4:5]
	s_mov_b32 s4, exec_lo
	v_cmpx_gt_u32_e32 0x1000, v2
	s_cbranch_execz .LBB2_3
; %bb.2:
	global_load_b32 v4, v2, s[2:3] scale_offset
	s_wait_loadcnt 0x0
	ds_store_b32 v3, v4
.LBB2_3:
	s_or_b32 exec_lo, exec_lo, s4
	s_delay_alu instid0(SALU_CYCLE_1)
	s_mov_b32 s4, exec_lo
	v_cmpx_gt_u32_e32 0xe00, v2
	s_cbranch_execz .LBB2_5
; %bb.4:
	global_load_b32 v4, v2, s[2:3] offset:2048 scale_offset
	s_wait_loadcnt 0x0
	ds_store_b32 v3, v4 offset:2048
.LBB2_5:
	s_or_b32 exec_lo, exec_lo, s4
	s_delay_alu instid0(SALU_CYCLE_1)
	s_mov_b32 s4, exec_lo
	v_cmpx_gt_u32_e32 0xc00, v2
	s_cbranch_execz .LBB2_7
; %bb.6:
	global_load_b32 v4, v2, s[2:3] offset:4096 scale_offset
	s_wait_loadcnt 0x0
	ds_store_b32 v3, v4 offset:4096
.LBB2_7:
	;; [unrolled: 10-line block ×4, first 2 shown]
	s_or_b32 exec_lo, exec_lo, s4
	s_load_b128 s[68:71], s[0:1], 0x48
	s_mov_b32 s4, exec_lo
	v_cmpx_gt_u32_e32 0x600, v2
	s_cbranch_execz .LBB2_13
; %bb.12:
	global_load_b32 v4, v2, s[2:3] offset:10240 scale_offset
	s_wait_loadcnt 0x0
	ds_store_b32 v3, v4 offset:10240
.LBB2_13:
	s_or_b32 exec_lo, exec_lo, s4
	s_delay_alu instid0(SALU_CYCLE_1)
	s_mov_b32 s4, exec_lo
	v_cmpx_gt_u32_e32 0x400, v2
	s_cbranch_execz .LBB2_15
; %bb.14:
	global_load_b32 v4, v2, s[2:3] offset:12288 scale_offset
	s_wait_loadcnt 0x0
	ds_store_b32 v3, v4 offset:12288
.LBB2_15:
	s_or_b32 exec_lo, exec_lo, s4
	s_load_b64 s[4:5], s[0:1], 0x8
	s_mov_b32 s6, exec_lo
	v_cmpx_gt_u32_e32 0x200, v2
	s_cbranch_execz .LBB2_17
; %bb.16:
	global_load_b32 v2, v2, s[2:3] offset:14336 scale_offset
	s_wait_loadcnt 0x0
	ds_store_b32 v3, v2 offset:14336
.LBB2_17:
	s_or_b32 exec_lo, exec_lo, s6
	s_mul_u64 s[2:3], s[8:9], s[72:73]
	s_mul_u64 s[6:7], s[10:11], s[74:75]
	s_lshl_b64 s[2:3], s[2:3], 2
	v_dual_mov_b32 v10, 0 :: v_dual_lshlrev_b32 v1, 2, v1
	s_wait_kmcnt 0x0
	s_add_nc_u64 s[4:5], s[4:5], s[2:3]
	v_cmp_gt_u32_e64 s2, 64, v0
	v_mov_b32_e32 v9, 0
	s_lshl_b64 s[6:7], s[6:7], 2
	s_wait_dscnt 0x0
	s_add_nc_u64 s[4:5], s[4:5], s[6:7]
	s_barrier_signal -1
	s_barrier_wait -1
	s_and_saveexec_b32 s3, s2
	s_cbranch_execz .LBB2_19
; %bb.18:
	v_lshl_or_b32 v2, v0, 6, v1
	global_load_b32 v9, v2, s[4:5]
.LBB2_19:
	s_wait_xcnt 0x0
	s_or_b32 exec_lo, exec_lo, s3
	v_add_nc_u32_e32 v2, 32, v0
	v_cmp_gt_u32_e64 s3, 32, v0
	s_and_saveexec_b32 s6, s3
	s_cbranch_execz .LBB2_21
; %bb.20:
	v_lshl_or_b32 v3, v2, 6, v1
	global_load_b32 v10, v3, s[4:5]
.LBB2_21:
	s_wait_xcnt 0x0
	s_or_b32 exec_lo, exec_lo, s6
	v_cmp_eq_u32_e64 s4, 0, v0
	s_and_saveexec_b32 s5, s4
	s_cbranch_execz .LBB2_23
; %bb.22:
	v_mov_b32_e32 v3, 0
	ds_load_b32 v3, v3
	s_wait_loadcnt_dscnt 0x0
	v_div_scale_f32 v4, null, v3, v3, v9
	s_delay_alu instid0(VALU_DEP_1) | instskip(SKIP_1) | instid1(TRANS32_DEP_1)
	v_rcp_f32_e32 v5, v4
	v_nop
	v_fma_f32 v6, -v4, v5, 1.0
	s_delay_alu instid0(VALU_DEP_1) | instskip(SKIP_1) | instid1(VALU_DEP_1)
	v_fmac_f32_e32 v5, v6, v5
	v_div_scale_f32 v6, vcc_lo, v9, v3, v9
	v_mul_f32_e32 v7, v6, v5
	s_delay_alu instid0(VALU_DEP_1) | instskip(NEXT) | instid1(VALU_DEP_1)
	v_fma_f32 v8, -v4, v7, v6
	v_fmac_f32_e32 v7, v8, v5
	s_delay_alu instid0(VALU_DEP_1) | instskip(NEXT) | instid1(VALU_DEP_1)
	v_fma_f32 v4, -v4, v7, v6
	v_div_fmas_f32 v4, v4, v5, v7
	s_delay_alu instid0(VALU_DEP_1)
	v_div_fixup_f32 v9, v4, v3, v9
.LBB2_23:
	s_or_b32 exec_lo, exec_lo, s5
	v_dual_mov_b32 v6, 0 :: v_dual_lshlrev_b32 v3, 2, v0
	s_and_saveexec_b32 s5, s4
	s_cbranch_execz .LBB2_25
; %bb.24:
	ds_load_b32 v4, v3 offset:256
	s_wait_loadcnt_dscnt 0x0
	v_fma_f32 v6, v9, v4, 0
.LBB2_25:
	s_or_b32 exec_lo, exec_lo, s5
	v_mbcnt_lo_u32_b32 v8, -1, 0
	v_cmp_eq_u32_e64 s37, 1, v0
	s_delay_alu instid0(VALU_DEP_2) | instskip(SKIP_2) | instid1(VALU_DEP_2)
	v_xor_b32_e32 v5, 8, v8
	v_xor_b32_e32 v4, 16, v8
	;; [unrolled: 1-line block ×3, first 2 shown]
	v_cmp_gt_i32_e32 vcc_lo, 32, v4
	v_cndmask_b32_e32 v4, v8, v4, vcc_lo
	v_cmp_gt_i32_e32 vcc_lo, 32, v5
	v_cndmask_b32_e32 v5, v8, v5, vcc_lo
	s_delay_alu instid0(VALU_DEP_1)
	v_dual_lshlrev_b32 v5, 2, v5 :: v_dual_lshlrev_b32 v4, 2, v4
	ds_bpermute_b32 v7, v4, v6
	s_wait_dscnt 0x0
	v_add_f32_e32 v7, v6, v7
	ds_bpermute_b32 v11, v5, v7
	s_wait_dscnt 0x0
	v_dual_add_f32 v11, v7, v11 :: v_dual_bitop2_b32 v6, 4, v8 bitop3:0x14
	s_delay_alu instid0(VALU_DEP_1) | instskip(SKIP_1) | instid1(VALU_DEP_1)
	v_cmp_gt_i32_e32 vcc_lo, 32, v6
	v_dual_cndmask_b32 v6, v8, v6, vcc_lo :: v_dual_bitop2_b32 v7, 2, v8 bitop3:0x14
	v_cmp_gt_i32_e32 vcc_lo, 32, v7
	s_delay_alu instid0(VALU_DEP_2) | instskip(SKIP_4) | instid1(VALU_DEP_2)
	v_lshlrev_b32_e32 v6, 2, v6
	ds_bpermute_b32 v12, v6, v11
	v_cndmask_b32_e32 v7, v8, v7, vcc_lo
	v_cmp_gt_i32_e32 vcc_lo, 32, v13
	s_wait_dscnt 0x0
	v_dual_add_f32 v11, v11, v12 :: v_dual_lshlrev_b32 v7, 2, v7
	ds_bpermute_b32 v12, v7, v11
	s_wait_dscnt 0x0
	v_dual_cndmask_b32 v8, v8, v13 :: v_dual_add_f32 v11, v11, v12
	s_delay_alu instid0(VALU_DEP_1)
	v_lshlrev_b32_e32 v8, 2, v8
	ds_bpermute_b32 v12, v8, v11
	s_and_saveexec_b32 s5, s37
	s_cbranch_execz .LBB2_27
; %bb.26:
	s_wait_dscnt 0x0
	v_dual_mov_b32 v13, 0 :: v_dual_add_f32 v11, v11, v12
	ds_load_b32 v13, v13 offset:260
	s_wait_loadcnt 0x0
	v_sub_f32_e32 v9, v9, v11
	s_wait_dscnt 0x0
	s_delay_alu instid0(VALU_DEP_1) | instskip(NEXT) | instid1(VALU_DEP_1)
	v_div_scale_f32 v11, null, v13, v13, v9
	v_rcp_f32_e32 v12, v11
	v_nop
	s_delay_alu instid0(TRANS32_DEP_1) | instskip(NEXT) | instid1(VALU_DEP_1)
	v_fma_f32 v14, -v11, v12, 1.0
	v_fmac_f32_e32 v12, v14, v12
	v_div_scale_f32 v14, vcc_lo, v9, v13, v9
	s_delay_alu instid0(VALU_DEP_1) | instskip(NEXT) | instid1(VALU_DEP_1)
	v_mul_f32_e32 v15, v14, v12
	v_fma_f32 v16, -v11, v15, v14
	s_delay_alu instid0(VALU_DEP_1) | instskip(NEXT) | instid1(VALU_DEP_1)
	v_fmac_f32_e32 v15, v16, v12
	v_fma_f32 v11, -v11, v15, v14
	s_delay_alu instid0(VALU_DEP_1) | instskip(NEXT) | instid1(VALU_DEP_1)
	v_div_fmas_f32 v11, v11, v12, v15
	v_div_fixup_f32 v9, v11, v13, v9
.LBB2_27:
	s_or_b32 exec_lo, exec_lo, s5
	v_cmp_gt_u32_e64 s6, 2, v0
	v_mov_b32_e32 v11, 0
	s_and_saveexec_b32 s5, s6
	s_cbranch_execz .LBB2_29
; %bb.28:
	ds_load_b32 v11, v3 offset:512
	s_wait_loadcnt_dscnt 0x0
	v_fma_f32 v11, v9, v11, 0
.LBB2_29:
	s_or_b32 exec_lo, exec_lo, s5
	s_wait_dscnt 0x0
	ds_bpermute_b32 v12, v4, v11
	v_cmp_eq_u32_e64 s38, 2, v0
	s_wait_dscnt 0x0
	v_add_f32_e32 v11, v11, v12
	ds_bpermute_b32 v12, v5, v11
	s_wait_dscnt 0x0
	v_add_f32_e32 v11, v11, v12
	ds_bpermute_b32 v12, v6, v11
	s_wait_dscnt 0x0
	v_add_f32_e32 v11, v11, v12
	ds_bpermute_b32 v12, v7, v11
	s_wait_dscnt 0x0
	v_add_f32_e32 v11, v11, v12
	ds_bpermute_b32 v12, v8, v11
	s_and_saveexec_b32 s5, s38
	s_cbranch_execz .LBB2_31
; %bb.30:
	s_wait_dscnt 0x0
	v_dual_mov_b32 v13, 0 :: v_dual_add_f32 v11, v11, v12
	ds_load_b32 v13, v13 offset:520
	s_wait_loadcnt 0x0
	v_sub_f32_e32 v9, v9, v11
	s_wait_dscnt 0x0
	s_delay_alu instid0(VALU_DEP_1) | instskip(NEXT) | instid1(VALU_DEP_1)
	v_div_scale_f32 v11, null, v13, v13, v9
	v_rcp_f32_e32 v12, v11
	v_nop
	s_delay_alu instid0(TRANS32_DEP_1) | instskip(NEXT) | instid1(VALU_DEP_1)
	v_fma_f32 v14, -v11, v12, 1.0
	v_fmac_f32_e32 v12, v14, v12
	v_div_scale_f32 v14, vcc_lo, v9, v13, v9
	s_delay_alu instid0(VALU_DEP_1) | instskip(NEXT) | instid1(VALU_DEP_1)
	v_mul_f32_e32 v15, v14, v12
	v_fma_f32 v16, -v11, v15, v14
	s_delay_alu instid0(VALU_DEP_1) | instskip(NEXT) | instid1(VALU_DEP_1)
	v_fmac_f32_e32 v15, v16, v12
	v_fma_f32 v11, -v11, v15, v14
	s_delay_alu instid0(VALU_DEP_1) | instskip(NEXT) | instid1(VALU_DEP_1)
	v_div_fmas_f32 v11, v11, v12, v15
	v_div_fixup_f32 v9, v11, v13, v9
.LBB2_31:
	s_or_b32 exec_lo, exec_lo, s5
	v_cmp_gt_u32_e64 s7, 3, v0
	v_mov_b32_e32 v11, 0
	s_and_saveexec_b32 s5, s7
	s_cbranch_execz .LBB2_33
; %bb.32:
	ds_load_b32 v11, v3 offset:768
	s_wait_loadcnt_dscnt 0x0
	v_fma_f32 v11, v9, v11, 0
.LBB2_33:
	s_or_b32 exec_lo, exec_lo, s5
	s_wait_dscnt 0x0
	ds_bpermute_b32 v12, v4, v11
	v_cmp_eq_u32_e64 s39, 3, v0
	s_wait_dscnt 0x0
	v_add_f32_e32 v11, v11, v12
	ds_bpermute_b32 v12, v5, v11
	s_wait_dscnt 0x0
	v_add_f32_e32 v11, v11, v12
	ds_bpermute_b32 v12, v6, v11
	s_wait_dscnt 0x0
	v_add_f32_e32 v11, v11, v12
	ds_bpermute_b32 v12, v7, v11
	s_wait_dscnt 0x0
	v_add_f32_e32 v11, v11, v12
	;; [unrolled: 53-line block ×30, first 2 shown]
	ds_bpermute_b32 v12, v8, v11
	s_and_saveexec_b32 s67, s5
	s_cbranch_execz .LBB2_147
; %bb.146:
	s_wait_dscnt 0x0
	v_dual_mov_b32 v13, 0 :: v_dual_add_f32 v11, v11, v12
	ds_load_b32 v13, v13 offset:8060
	s_wait_loadcnt 0x0
	v_sub_f32_e32 v9, v9, v11
	s_wait_dscnt 0x0
	s_delay_alu instid0(VALU_DEP_1) | instskip(NEXT) | instid1(VALU_DEP_1)
	v_div_scale_f32 v11, null, v13, v13, v9
	v_rcp_f32_e32 v12, v11
	v_nop
	s_delay_alu instid0(TRANS32_DEP_1) | instskip(NEXT) | instid1(VALU_DEP_1)
	v_fma_f32 v14, -v11, v12, 1.0
	v_fmac_f32_e32 v12, v14, v12
	v_div_scale_f32 v14, vcc_lo, v9, v13, v9
	s_delay_alu instid0(VALU_DEP_1) | instskip(NEXT) | instid1(VALU_DEP_1)
	v_mul_f32_e32 v15, v14, v12
	v_fma_f32 v16, -v11, v15, v14
	s_delay_alu instid0(VALU_DEP_1) | instskip(NEXT) | instid1(VALU_DEP_1)
	v_fmac_f32_e32 v15, v16, v12
	v_fma_f32 v11, -v11, v15, v14
	s_delay_alu instid0(VALU_DEP_1) | instskip(NEXT) | instid1(VALU_DEP_1)
	v_div_fmas_f32 v11, v11, v12, v15
	v_div_fixup_f32 v9, v11, v13, v9
.LBB2_147:
	s_or_b32 exec_lo, exec_lo, s67
	ds_load_b32 v11, v3 offset:8192
	s_wait_loadcnt_dscnt 0x0
	v_mul_f32_e32 v12, v9, v11
	ds_bpermute_b32 v12, v4, v12
	s_wait_dscnt 0x0
	v_fmac_f32_e32 v12, v9, v11
	ds_bpermute_b32 v11, v5, v12
	s_wait_dscnt 0x0
	v_add_f32_e32 v11, v12, v11
	ds_bpermute_b32 v12, v6, v11
	s_wait_dscnt 0x0
	v_add_f32_e32 v11, v11, v12
	ds_bpermute_b32 v12, v7, v11
	s_wait_dscnt 0x0
	v_add_f32_e32 v11, v11, v12
	ds_bpermute_b32 v12, v8, v11
	s_and_saveexec_b32 s67, s4
	s_cbranch_execz .LBB2_149
; %bb.148:
	s_wait_dscnt 0x0
	v_dual_mov_b32 v13, 0 :: v_dual_add_f32 v11, v11, v12
	ds_load_b32 v13, v13 offset:8320
	v_sub_f32_e32 v10, v10, v11
	s_wait_dscnt 0x0
	s_delay_alu instid0(VALU_DEP_1) | instskip(NEXT) | instid1(VALU_DEP_1)
	v_div_scale_f32 v11, null, v13, v13, v10
	v_rcp_f32_e32 v12, v11
	v_nop
	s_delay_alu instid0(TRANS32_DEP_1) | instskip(NEXT) | instid1(VALU_DEP_1)
	v_fma_f32 v14, -v11, v12, 1.0
	v_fmac_f32_e32 v12, v14, v12
	v_div_scale_f32 v14, vcc_lo, v10, v13, v10
	s_delay_alu instid0(VALU_DEP_1) | instskip(NEXT) | instid1(VALU_DEP_1)
	v_mul_f32_e32 v15, v14, v12
	v_fma_f32 v16, -v11, v15, v14
	s_delay_alu instid0(VALU_DEP_1) | instskip(NEXT) | instid1(VALU_DEP_1)
	v_fmac_f32_e32 v15, v16, v12
	v_fma_f32 v11, -v11, v15, v14
	s_delay_alu instid0(VALU_DEP_1) | instskip(NEXT) | instid1(VALU_DEP_1)
	v_div_fmas_f32 v11, v11, v12, v15
	v_div_fixup_f32 v10, v11, v13, v10
.LBB2_149:
	s_or_b32 exec_lo, exec_lo, s67
	ds_load_b32 v11, v3 offset:8448
	s_wait_dscnt 0x0
	v_mul_f32_e32 v11, v9, v11
	s_and_saveexec_b32 s67, s4
	s_cbranch_execz .LBB2_151
; %bb.150:
	ds_load_b32 v12, v3 offset:8576
	s_wait_dscnt 0x0
	v_fmac_f32_e32 v11, v10, v12
.LBB2_151:
	s_or_b32 exec_lo, exec_lo, s67
	ds_bpermute_b32 v12, v4, v11
	s_wait_dscnt 0x0
	v_add_f32_e32 v11, v11, v12
	ds_bpermute_b32 v12, v5, v11
	s_wait_dscnt 0x0
	v_add_f32_e32 v11, v11, v12
	ds_bpermute_b32 v12, v6, v11
	s_wait_dscnt 0x0
	v_add_f32_e32 v11, v11, v12
	ds_bpermute_b32 v12, v7, v11
	s_wait_dscnt 0x0
	v_add_f32_e32 v11, v11, v12
	ds_bpermute_b32 v12, v8, v11
	s_and_saveexec_b32 s4, s37
	s_cbranch_execz .LBB2_153
; %bb.152:
	s_wait_dscnt 0x0
	v_dual_mov_b32 v13, 0 :: v_dual_add_f32 v11, v11, v12
	ds_load_b32 v13, v13 offset:8580
	v_sub_f32_e32 v10, v10, v11
	s_wait_dscnt 0x0
	s_delay_alu instid0(VALU_DEP_1) | instskip(NEXT) | instid1(VALU_DEP_1)
	v_div_scale_f32 v11, null, v13, v13, v10
	v_rcp_f32_e32 v12, v11
	v_nop
	s_delay_alu instid0(TRANS32_DEP_1) | instskip(NEXT) | instid1(VALU_DEP_1)
	v_fma_f32 v14, -v11, v12, 1.0
	v_fmac_f32_e32 v12, v14, v12
	v_div_scale_f32 v14, vcc_lo, v10, v13, v10
	s_delay_alu instid0(VALU_DEP_1) | instskip(NEXT) | instid1(VALU_DEP_1)
	v_mul_f32_e32 v15, v14, v12
	v_fma_f32 v16, -v11, v15, v14
	s_delay_alu instid0(VALU_DEP_1) | instskip(NEXT) | instid1(VALU_DEP_1)
	v_fmac_f32_e32 v15, v16, v12
	v_fma_f32 v11, -v11, v15, v14
	s_delay_alu instid0(VALU_DEP_1) | instskip(NEXT) | instid1(VALU_DEP_1)
	v_div_fmas_f32 v11, v11, v12, v15
	v_div_fixup_f32 v10, v11, v13, v10
.LBB2_153:
	s_or_b32 exec_lo, exec_lo, s4
	ds_load_b32 v11, v3 offset:8704
	s_wait_dscnt 0x0
	v_mul_f32_e32 v11, v9, v11
	s_and_saveexec_b32 s4, s6
	s_cbranch_execz .LBB2_155
; %bb.154:
	ds_load_b32 v12, v3 offset:8832
	s_wait_dscnt 0x0
	v_fmac_f32_e32 v11, v10, v12
.LBB2_155:
	s_or_b32 exec_lo, exec_lo, s4
	ds_bpermute_b32 v12, v4, v11
	s_wait_dscnt 0x0
	v_add_f32_e32 v11, v11, v12
	;; [unrolled: 51-line block ×30, first 2 shown]
	ds_bpermute_b32 v12, v5, v11
	s_wait_dscnt 0x0
	v_add_f32_e32 v11, v11, v12
	ds_bpermute_b32 v12, v6, v11
	s_wait_dscnt 0x0
	v_add_f32_e32 v11, v11, v12
	;; [unrolled: 3-line block ×3, first 2 shown]
	ds_bpermute_b32 v12, v8, v11
	s_and_saveexec_b32 s4, s66
	s_cbranch_execz .LBB2_269
; %bb.268:
	s_wait_dscnt 0x0
	v_dual_mov_b32 v13, 0 :: v_dual_add_f32 v11, v11, v12
	ds_load_b32 v13, v13 offset:16120
	v_sub_f32_e32 v10, v10, v11
	s_wait_dscnt 0x0
	s_delay_alu instid0(VALU_DEP_1) | instskip(NEXT) | instid1(VALU_DEP_1)
	v_div_scale_f32 v11, null, v13, v13, v10
	v_rcp_f32_e32 v12, v11
	v_nop
	s_delay_alu instid0(TRANS32_DEP_1) | instskip(NEXT) | instid1(VALU_DEP_1)
	v_fma_f32 v14, -v11, v12, 1.0
	v_fmac_f32_e32 v12, v14, v12
	v_div_scale_f32 v14, vcc_lo, v10, v13, v10
	s_delay_alu instid0(VALU_DEP_1) | instskip(NEXT) | instid1(VALU_DEP_1)
	v_mul_f32_e32 v15, v14, v12
	v_fma_f32 v16, -v11, v15, v14
	s_delay_alu instid0(VALU_DEP_1) | instskip(NEXT) | instid1(VALU_DEP_1)
	v_fmac_f32_e32 v15, v16, v12
	v_fma_f32 v11, -v11, v15, v14
	s_delay_alu instid0(VALU_DEP_1) | instskip(NEXT) | instid1(VALU_DEP_1)
	v_div_fmas_f32 v11, v11, v12, v15
	v_div_fixup_f32 v10, v11, v13, v10
.LBB2_269:
	s_or_b32 exec_lo, exec_lo, s4
	ds_load_b32 v11, v3 offset:16128
	s_wait_dscnt 0x0
	v_mul_f32_e32 v11, v9, v11
	s_and_saveexec_b32 s4, s36
	s_cbranch_execz .LBB2_271
; %bb.270:
	ds_load_b32 v3, v3 offset:16256
	s_wait_dscnt 0x0
	v_fmac_f32_e32 v11, v10, v3
.LBB2_271:
	s_or_b32 exec_lo, exec_lo, s4
	ds_bpermute_b32 v3, v4, v11
	s_load_b64 s[0:1], s[0:1], 0x10
	s_wait_dscnt 0x0
	v_add_f32_e32 v3, v11, v3
	ds_bpermute_b32 v4, v5, v3
	s_wait_dscnt 0x0
	v_add_f32_e32 v3, v3, v4
	ds_bpermute_b32 v4, v6, v3
	s_wait_dscnt 0x0
	v_add_f32_e32 v3, v3, v4
	ds_bpermute_b32 v4, v7, v3
	s_wait_dscnt 0x0
	v_add_f32_e32 v3, v3, v4
	ds_bpermute_b32 v4, v8, v3
	s_and_saveexec_b32 s4, s5
	s_cbranch_execz .LBB2_273
; %bb.272:
	s_wait_dscnt 0x0
	v_dual_mov_b32 v5, 0 :: v_dual_add_f32 v3, v3, v4
	ds_load_b32 v5, v5 offset:16380
	v_sub_f32_e32 v3, v10, v3
	s_wait_dscnt 0x0
	s_delay_alu instid0(VALU_DEP_1) | instskip(NEXT) | instid1(VALU_DEP_1)
	v_div_scale_f32 v4, null, v5, v5, v3
	v_rcp_f32_e32 v6, v4
	v_nop
	s_delay_alu instid0(TRANS32_DEP_1) | instskip(NEXT) | instid1(VALU_DEP_1)
	v_fma_f32 v7, -v4, v6, 1.0
	v_fmac_f32_e32 v6, v7, v6
	v_div_scale_f32 v7, vcc_lo, v3, v5, v3
	s_delay_alu instid0(VALU_DEP_1) | instskip(NEXT) | instid1(VALU_DEP_1)
	v_mul_f32_e32 v8, v7, v6
	v_fma_f32 v10, -v4, v8, v7
	s_delay_alu instid0(VALU_DEP_1) | instskip(NEXT) | instid1(VALU_DEP_1)
	v_fmac_f32_e32 v8, v10, v6
	v_fma_f32 v4, -v4, v8, v7
	s_delay_alu instid0(VALU_DEP_1) | instskip(NEXT) | instid1(VALU_DEP_1)
	v_div_fmas_f32 v4, v4, v6, v8
	v_div_fixup_f32 v10, v4, v5, v3
.LBB2_273:
	s_or_b32 exec_lo, exec_lo, s4
	s_mul_u64 s[4:5], s[68:69], s[72:73]
	s_mul_u64 s[6:7], s[70:71], s[74:75]
	s_lshl_b64 s[4:5], s[4:5], 2
	s_wait_kmcnt 0x0
	s_add_nc_u64 s[0:1], s[0:1], s[4:5]
	s_lshl_b64 s[4:5], s[6:7], 2
	s_delay_alu instid0(SALU_CYCLE_1)
	s_add_nc_u64 s[0:1], s[0:1], s[4:5]
	s_and_saveexec_b32 s4, s2
	s_cbranch_execz .LBB2_275
; %bb.274:
	v_lshl_or_b32 v0, v0, 6, v1
	v_cndmask_b32_e64 v3, v10, v9, s3
	global_store_b32 v0, v3, s[0:1]
.LBB2_275:
	s_wait_xcnt 0x0
	s_or_b32 exec_lo, exec_lo, s4
	s_delay_alu instid0(SALU_CYCLE_1)
	s_and_b32 exec_lo, exec_lo, s3
	s_cbranch_execz .LBB2_277
; %bb.276:
	v_lshl_or_b32 v0, v2, 6, v1
	global_store_b32 v0, v10, s[0:1]
.LBB2_277:
	s_endpgm
	.section	.rodata,"a",@progbits
	.p2align	6, 0x0
	.amdhsa_kernel _ZL18solve_tri_f32_fastILi64ELi16EEvPKfS1_Pf15HIP_vector_typeIjLj3EEmmmmmmii
		.amdhsa_group_segment_fixed_size 16384
		.amdhsa_private_segment_fixed_size 0
		.amdhsa_kernarg_size 352
		.amdhsa_user_sgpr_count 2
		.amdhsa_user_sgpr_dispatch_ptr 0
		.amdhsa_user_sgpr_queue_ptr 0
		.amdhsa_user_sgpr_kernarg_segment_ptr 1
		.amdhsa_user_sgpr_dispatch_id 0
		.amdhsa_user_sgpr_kernarg_preload_length 0
		.amdhsa_user_sgpr_kernarg_preload_offset 0
		.amdhsa_user_sgpr_private_segment_size 0
		.amdhsa_wavefront_size32 1
		.amdhsa_uses_dynamic_stack 0
		.amdhsa_enable_private_segment 0
		.amdhsa_system_sgpr_workgroup_id_x 1
		.amdhsa_system_sgpr_workgroup_id_y 0
		.amdhsa_system_sgpr_workgroup_id_z 0
		.amdhsa_system_sgpr_workgroup_info 0
		.amdhsa_system_vgpr_workitem_id 1
		.amdhsa_next_free_vgpr 17
		.amdhsa_next_free_sgpr 76
		.amdhsa_named_barrier_count 0
		.amdhsa_reserve_vcc 1
		.amdhsa_float_round_mode_32 0
		.amdhsa_float_round_mode_16_64 0
		.amdhsa_float_denorm_mode_32 3
		.amdhsa_float_denorm_mode_16_64 3
		.amdhsa_fp16_overflow 0
		.amdhsa_memory_ordered 1
		.amdhsa_forward_progress 1
		.amdhsa_inst_pref_size 139
		.amdhsa_round_robin_scheduling 0
		.amdhsa_exception_fp_ieee_invalid_op 0
		.amdhsa_exception_fp_denorm_src 0
		.amdhsa_exception_fp_ieee_div_zero 0
		.amdhsa_exception_fp_ieee_overflow 0
		.amdhsa_exception_fp_ieee_underflow 0
		.amdhsa_exception_fp_ieee_inexact 0
		.amdhsa_exception_int_div_zero 0
	.end_amdhsa_kernel
	.section	.text._ZL18solve_tri_f32_fastILi64ELi16EEvPKfS1_Pf15HIP_vector_typeIjLj3EEmmmmmmii,"axG",@progbits,_ZL18solve_tri_f32_fastILi64ELi16EEvPKfS1_Pf15HIP_vector_typeIjLj3EEmmmmmmii,comdat
.Lfunc_end2:
	.size	_ZL18solve_tri_f32_fastILi64ELi16EEvPKfS1_Pf15HIP_vector_typeIjLj3EEmmmmmmii, .Lfunc_end2-_ZL18solve_tri_f32_fastILi64ELi16EEvPKfS1_Pf15HIP_vector_typeIjLj3EEmmmmmmii
                                        ; -- End function
	.set _ZL18solve_tri_f32_fastILi64ELi16EEvPKfS1_Pf15HIP_vector_typeIjLj3EEmmmmmmii.num_vgpr, 17
	.set _ZL18solve_tri_f32_fastILi64ELi16EEvPKfS1_Pf15HIP_vector_typeIjLj3EEmmmmmmii.num_agpr, 0
	.set _ZL18solve_tri_f32_fastILi64ELi16EEvPKfS1_Pf15HIP_vector_typeIjLj3EEmmmmmmii.numbered_sgpr, 76
	.set _ZL18solve_tri_f32_fastILi64ELi16EEvPKfS1_Pf15HIP_vector_typeIjLj3EEmmmmmmii.num_named_barrier, 0
	.set _ZL18solve_tri_f32_fastILi64ELi16EEvPKfS1_Pf15HIP_vector_typeIjLj3EEmmmmmmii.private_seg_size, 0
	.set _ZL18solve_tri_f32_fastILi64ELi16EEvPKfS1_Pf15HIP_vector_typeIjLj3EEmmmmmmii.uses_vcc, 1
	.set _ZL18solve_tri_f32_fastILi64ELi16EEvPKfS1_Pf15HIP_vector_typeIjLj3EEmmmmmmii.uses_flat_scratch, 0
	.set _ZL18solve_tri_f32_fastILi64ELi16EEvPKfS1_Pf15HIP_vector_typeIjLj3EEmmmmmmii.has_dyn_sized_stack, 0
	.set _ZL18solve_tri_f32_fastILi64ELi16EEvPKfS1_Pf15HIP_vector_typeIjLj3EEmmmmmmii.has_recursion, 0
	.set _ZL18solve_tri_f32_fastILi64ELi16EEvPKfS1_Pf15HIP_vector_typeIjLj3EEmmmmmmii.has_indirect_call, 0
	.section	.AMDGPU.csdata,"",@progbits
; Kernel info:
; codeLenInByte = 17688
; TotalNumSgprs: 78
; NumVgprs: 17
; ScratchSize: 0
; MemoryBound: 0
; FloatMode: 240
; IeeeMode: 1
; LDSByteSize: 16384 bytes/workgroup (compile time only)
; SGPRBlocks: 0
; VGPRBlocks: 1
; NumSGPRsForWavesPerEU: 78
; NumVGPRsForWavesPerEU: 17
; NamedBarCnt: 0
; Occupancy: 16
; WaveLimiterHint : 0
; COMPUTE_PGM_RSRC2:SCRATCH_EN: 0
; COMPUTE_PGM_RSRC2:USER_SGPR: 2
; COMPUTE_PGM_RSRC2:TRAP_HANDLER: 0
; COMPUTE_PGM_RSRC2:TGID_X_EN: 1
; COMPUTE_PGM_RSRC2:TGID_Y_EN: 0
; COMPUTE_PGM_RSRC2:TGID_Z_EN: 0
; COMPUTE_PGM_RSRC2:TIDIG_COMP_CNT: 1
	.section	.text._ZL18solve_tri_f32_fastILi64ELi14EEvPKfS1_Pf15HIP_vector_typeIjLj3EEmmmmmmii,"axG",@progbits,_ZL18solve_tri_f32_fastILi64ELi14EEvPKfS1_Pf15HIP_vector_typeIjLj3EEmmmmmmii,comdat
	.globl	_ZL18solve_tri_f32_fastILi64ELi14EEvPKfS1_Pf15HIP_vector_typeIjLj3EEmmmmmmii ; -- Begin function _ZL18solve_tri_f32_fastILi64ELi14EEvPKfS1_Pf15HIP_vector_typeIjLj3EEmmmmmmii
	.p2align	8
	.type	_ZL18solve_tri_f32_fastILi64ELi14EEvPKfS1_Pf15HIP_vector_typeIjLj3EEmmmmmmii,@function
_ZL18solve_tri_f32_fastILi64ELi14EEvPKfS1_Pf15HIP_vector_typeIjLj3EEmmmmmmii: ; @_ZL18solve_tri_f32_fastILi64ELi14EEvPKfS1_Pf15HIP_vector_typeIjLj3EEmmmmmmii
; %bb.0:
	v_bfe_u32 v1, v0, 10, 10
	s_mov_b32 s2, exec_lo
	s_delay_alu instid0(VALU_DEP_1)
	v_cmpx_gt_u32_e32 14, v1
	s_cbranch_execz .LBB3_281
; %bb.1:
	s_clause 0x2
	s_load_b96 s[12:14], s[0:1], 0x18
	s_load_b32 s15, s[0:1], 0x6c
	s_load_b256 s[4:11], s[0:1], 0x28
	s_bfe_u32 s16, ttmp6, 0x4000c
	s_and_b32 s17, ttmp6, 15
	s_add_co_i32 s16, s16, 1
	s_load_b64 s[2:3], s[0:1], 0x0
	s_mul_i32 s16, ttmp9, s16
	s_getreg_b32 s18, hwreg(HW_REG_IB_STS2, 6, 4)
	s_add_co_i32 s17, s17, s16
	s_cmp_eq_u32 s18, 0
	v_and_b32_e32 v10, 0x3ff, v0
	s_cselect_b32 s16, ttmp9, s17
	s_mov_b32 s73, 0
	s_delay_alu instid0(SALU_CYCLE_1)
	s_mov_b32 s75, s73
	s_wait_kmcnt 0x0
	s_mul_hi_u32 s12, s12, s16
	s_and_b32 s15, s15, 0xffff
	s_add_co_i32 s12, s16, s12
	v_mad_u32_u24 v0, v1, s15, v10
	s_lshr_b32 s74, s12, s13
	s_delay_alu instid0(SALU_CYCLE_1) | instskip(SKIP_4) | instid1(SALU_CYCLE_1)
	s_mul_i32 s12, s74, s14
	s_mul_u64 s[6:7], s[6:7], s[74:75]
	s_sub_co_i32 s72, s16, s12
	v_lshlrev_b32_e32 v2, 2, v0
	s_mul_u64 s[4:5], s[4:5], s[72:73]
	s_lshl_b64 s[4:5], s[4:5], 2
	s_delay_alu instid0(SALU_CYCLE_1) | instskip(SKIP_1) | instid1(SALU_CYCLE_1)
	s_add_nc_u64 s[2:3], s[2:3], s[4:5]
	s_lshl_b64 s[4:5], s[6:7], 2
	s_add_nc_u64 s[2:3], s[2:3], s[4:5]
	s_mov_b32 s4, exec_lo
	v_cmpx_gt_u32_e32 0x1000, v0
	s_cbranch_execz .LBB3_3
; %bb.2:
	global_load_b32 v3, v0, s[2:3] scale_offset
	s_wait_loadcnt 0x0
	ds_store_b32 v2, v3
.LBB3_3:
	s_or_b32 exec_lo, exec_lo, s4
	s_delay_alu instid0(SALU_CYCLE_1)
	s_mov_b32 s4, exec_lo
	v_cmpx_gt_u32_e32 0xe40, v0
	s_cbranch_execz .LBB3_5
; %bb.4:
	global_load_b32 v3, v0, s[2:3] offset:1792 scale_offset
	s_wait_loadcnt 0x0
	ds_store_b32 v2, v3 offset:1792
.LBB3_5:
	s_or_b32 exec_lo, exec_lo, s4
	s_delay_alu instid0(SALU_CYCLE_1)
	s_mov_b32 s4, exec_lo
	v_cmpx_gt_u32_e32 0xc80, v0
	s_cbranch_execz .LBB3_7
; %bb.6:
	global_load_b32 v3, v0, s[2:3] offset:3584 scale_offset
	s_wait_loadcnt 0x0
	ds_store_b32 v2, v3 offset:3584
.LBB3_7:
	;; [unrolled: 10-line block ×6, first 2 shown]
	s_or_b32 exec_lo, exec_lo, s4
	s_load_b128 s[68:71], s[0:1], 0x48
	s_mov_b32 s4, exec_lo
	v_cmpx_gt_u32_e32 0x3c0, v0
	s_cbranch_execz .LBB3_17
; %bb.16:
	global_load_b32 v3, v0, s[2:3] offset:12544 scale_offset
	s_wait_loadcnt 0x0
	ds_store_b32 v2, v3 offset:12544
.LBB3_17:
	s_or_b32 exec_lo, exec_lo, s4
	s_delay_alu instid0(SALU_CYCLE_1)
	s_mov_b32 s4, exec_lo
	v_cmpx_gt_u32_e32 0x200, v0
	s_cbranch_execz .LBB3_19
; %bb.18:
	global_load_b32 v3, v0, s[2:3] offset:14336 scale_offset
	s_wait_loadcnt 0x0
	ds_store_b32 v2, v3 offset:14336
.LBB3_19:
	s_or_b32 exec_lo, exec_lo, s4
	s_load_b64 s[4:5], s[0:1], 0x8
	s_mov_b32 s6, exec_lo
	v_cmpx_gt_u32_e32 64, v0
	s_cbranch_execz .LBB3_21
; %bb.20:
	global_load_b32 v0, v0, s[2:3] offset:16128 scale_offset
	s_wait_loadcnt 0x0
	ds_store_b32 v2, v0 offset:16128
.LBB3_21:
	s_or_b32 exec_lo, exec_lo, s6
	s_mul_u64 s[2:3], s[8:9], s[72:73]
	s_mul_u64 s[6:7], s[10:11], s[74:75]
	s_lshl_b64 s[2:3], s[2:3], 2
	v_dual_mov_b32 v9, 0 :: v_dual_mov_b32 v8, 0
	s_wait_kmcnt 0x0
	s_add_nc_u64 s[4:5], s[4:5], s[2:3]
	v_cmp_gt_u32_e64 s2, 64, v10
	v_mad_u32_u24 v0, v10, 14, v1
	s_lshl_b64 s[6:7], s[6:7], 2
	s_wait_dscnt 0x0
	s_add_nc_u64 s[4:5], s[4:5], s[6:7]
	s_barrier_signal -1
	s_barrier_wait -1
	s_and_saveexec_b32 s3, s2
	s_cbranch_execz .LBB3_23
; %bb.22:
	global_load_b32 v8, v0, s[4:5] scale_offset
.LBB3_23:
	s_wait_xcnt 0x0
	s_or_b32 exec_lo, exec_lo, s3
	v_add_nc_u32_e32 v2, 32, v10
	v_cmp_gt_u32_e64 s3, 32, v10
	s_delay_alu instid0(VALU_DEP_2)
	v_mad_u32_u24 v1, v2, 14, v1
	s_and_saveexec_b32 s6, s3
	s_cbranch_execz .LBB3_25
; %bb.24:
	global_load_b32 v9, v1, s[4:5] scale_offset
.LBB3_25:
	s_wait_xcnt 0x0
	s_or_b32 exec_lo, exec_lo, s6
	v_cmp_eq_u32_e64 s4, 0, v10
	s_and_saveexec_b32 s5, s4
	s_cbranch_execz .LBB3_27
; %bb.26:
	v_mov_b32_e32 v2, 0
	ds_load_b32 v2, v2
	s_wait_loadcnt_dscnt 0x0
	v_div_scale_f32 v3, null, v2, v2, v8
	s_delay_alu instid0(VALU_DEP_1) | instskip(SKIP_1) | instid1(TRANS32_DEP_1)
	v_rcp_f32_e32 v4, v3
	v_nop
	v_fma_f32 v5, -v3, v4, 1.0
	s_delay_alu instid0(VALU_DEP_1) | instskip(SKIP_1) | instid1(VALU_DEP_1)
	v_fmac_f32_e32 v4, v5, v4
	v_div_scale_f32 v5, vcc_lo, v8, v2, v8
	v_mul_f32_e32 v6, v5, v4
	s_delay_alu instid0(VALU_DEP_1) | instskip(NEXT) | instid1(VALU_DEP_1)
	v_fma_f32 v7, -v3, v6, v5
	v_fmac_f32_e32 v6, v7, v4
	s_delay_alu instid0(VALU_DEP_1) | instskip(NEXT) | instid1(VALU_DEP_1)
	v_fma_f32 v3, -v3, v6, v5
	v_div_fmas_f32 v3, v3, v4, v6
	s_delay_alu instid0(VALU_DEP_1)
	v_div_fixup_f32 v8, v3, v2, v8
.LBB3_27:
	s_or_b32 exec_lo, exec_lo, s5
	v_dual_mov_b32 v5, 0 :: v_dual_lshlrev_b32 v2, 2, v10
	s_and_saveexec_b32 s5, s4
	s_cbranch_execz .LBB3_29
; %bb.28:
	ds_load_b32 v3, v2 offset:256
	s_wait_loadcnt_dscnt 0x0
	v_fma_f32 v5, v8, v3, 0
.LBB3_29:
	s_or_b32 exec_lo, exec_lo, s5
	v_mbcnt_lo_u32_b32 v7, -1, 0
	v_cmp_eq_u32_e64 s37, 1, v10
	s_delay_alu instid0(VALU_DEP_2) | instskip(SKIP_2) | instid1(VALU_DEP_2)
	v_xor_b32_e32 v4, 8, v7
	v_xor_b32_e32 v3, 16, v7
	;; [unrolled: 1-line block ×3, first 2 shown]
	v_cmp_gt_i32_e32 vcc_lo, 32, v3
	v_cndmask_b32_e32 v3, v7, v3, vcc_lo
	v_cmp_gt_i32_e32 vcc_lo, 32, v4
	v_cndmask_b32_e32 v4, v7, v4, vcc_lo
	s_delay_alu instid0(VALU_DEP_1)
	v_dual_lshlrev_b32 v4, 2, v4 :: v_dual_lshlrev_b32 v3, 2, v3
	ds_bpermute_b32 v6, v3, v5
	s_wait_dscnt 0x0
	v_add_f32_e32 v6, v5, v6
	ds_bpermute_b32 v11, v4, v6
	s_wait_dscnt 0x0
	v_add_f32_e32 v11, v6, v11
	v_xor_b32_e32 v6, 2, v7
	v_xor_b32_e32 v5, 4, v7
	s_delay_alu instid0(VALU_DEP_1) | instskip(SKIP_1) | instid1(VALU_DEP_4)
	v_cmp_gt_i32_e32 vcc_lo, 32, v5
	v_cndmask_b32_e32 v5, v7, v5, vcc_lo
	v_cmp_gt_i32_e32 vcc_lo, 32, v6
	s_delay_alu instid0(VALU_DEP_2) | instskip(SKIP_1) | instid1(VALU_DEP_2)
	v_dual_cndmask_b32 v6, v7, v6 :: v_dual_lshlrev_b32 v5, 2, v5
	v_cmp_gt_i32_e32 vcc_lo, 32, v13
	v_dual_cndmask_b32 v7, v7, v13 :: v_dual_lshlrev_b32 v6, 2, v6
	ds_bpermute_b32 v12, v5, v11
	s_wait_dscnt 0x0
	v_dual_lshlrev_b32 v7, 2, v7 :: v_dual_add_f32 v11, v11, v12
	ds_bpermute_b32 v12, v6, v11
	s_wait_dscnt 0x0
	v_add_f32_e32 v11, v11, v12
	ds_bpermute_b32 v12, v7, v11
	s_and_saveexec_b32 s5, s37
	s_cbranch_execz .LBB3_31
; %bb.30:
	s_wait_dscnt 0x0
	v_dual_mov_b32 v13, 0 :: v_dual_add_f32 v11, v11, v12
	ds_load_b32 v13, v13 offset:260
	s_wait_loadcnt 0x0
	v_sub_f32_e32 v8, v8, v11
	s_wait_dscnt 0x0
	s_delay_alu instid0(VALU_DEP_1) | instskip(NEXT) | instid1(VALU_DEP_1)
	v_div_scale_f32 v11, null, v13, v13, v8
	v_rcp_f32_e32 v12, v11
	v_nop
	s_delay_alu instid0(TRANS32_DEP_1) | instskip(NEXT) | instid1(VALU_DEP_1)
	v_fma_f32 v14, -v11, v12, 1.0
	v_fmac_f32_e32 v12, v14, v12
	v_div_scale_f32 v14, vcc_lo, v8, v13, v8
	s_delay_alu instid0(VALU_DEP_1) | instskip(NEXT) | instid1(VALU_DEP_1)
	v_mul_f32_e32 v15, v14, v12
	v_fma_f32 v16, -v11, v15, v14
	s_delay_alu instid0(VALU_DEP_1) | instskip(NEXT) | instid1(VALU_DEP_1)
	v_fmac_f32_e32 v15, v16, v12
	v_fma_f32 v11, -v11, v15, v14
	s_delay_alu instid0(VALU_DEP_1) | instskip(NEXT) | instid1(VALU_DEP_1)
	v_div_fmas_f32 v11, v11, v12, v15
	v_div_fixup_f32 v8, v11, v13, v8
.LBB3_31:
	s_or_b32 exec_lo, exec_lo, s5
	v_cmp_gt_u32_e64 s6, 2, v10
	v_mov_b32_e32 v11, 0
	s_and_saveexec_b32 s5, s6
	s_cbranch_execz .LBB3_33
; %bb.32:
	ds_load_b32 v11, v2 offset:512
	s_wait_loadcnt_dscnt 0x0
	v_fma_f32 v11, v8, v11, 0
.LBB3_33:
	s_or_b32 exec_lo, exec_lo, s5
	s_wait_dscnt 0x0
	ds_bpermute_b32 v12, v3, v11
	v_cmp_eq_u32_e64 s38, 2, v10
	s_wait_dscnt 0x0
	v_add_f32_e32 v11, v11, v12
	ds_bpermute_b32 v12, v4, v11
	s_wait_dscnt 0x0
	v_add_f32_e32 v11, v11, v12
	ds_bpermute_b32 v12, v5, v11
	s_wait_dscnt 0x0
	v_add_f32_e32 v11, v11, v12
	ds_bpermute_b32 v12, v6, v11
	s_wait_dscnt 0x0
	v_add_f32_e32 v11, v11, v12
	ds_bpermute_b32 v12, v7, v11
	s_and_saveexec_b32 s5, s38
	s_cbranch_execz .LBB3_35
; %bb.34:
	s_wait_dscnt 0x0
	v_dual_mov_b32 v13, 0 :: v_dual_add_f32 v11, v11, v12
	ds_load_b32 v13, v13 offset:520
	s_wait_loadcnt 0x0
	v_sub_f32_e32 v8, v8, v11
	s_wait_dscnt 0x0
	s_delay_alu instid0(VALU_DEP_1) | instskip(NEXT) | instid1(VALU_DEP_1)
	v_div_scale_f32 v11, null, v13, v13, v8
	v_rcp_f32_e32 v12, v11
	v_nop
	s_delay_alu instid0(TRANS32_DEP_1) | instskip(NEXT) | instid1(VALU_DEP_1)
	v_fma_f32 v14, -v11, v12, 1.0
	v_fmac_f32_e32 v12, v14, v12
	v_div_scale_f32 v14, vcc_lo, v8, v13, v8
	s_delay_alu instid0(VALU_DEP_1) | instskip(NEXT) | instid1(VALU_DEP_1)
	v_mul_f32_e32 v15, v14, v12
	v_fma_f32 v16, -v11, v15, v14
	s_delay_alu instid0(VALU_DEP_1) | instskip(NEXT) | instid1(VALU_DEP_1)
	v_fmac_f32_e32 v15, v16, v12
	v_fma_f32 v11, -v11, v15, v14
	s_delay_alu instid0(VALU_DEP_1) | instskip(NEXT) | instid1(VALU_DEP_1)
	v_div_fmas_f32 v11, v11, v12, v15
	v_div_fixup_f32 v8, v11, v13, v8
.LBB3_35:
	s_or_b32 exec_lo, exec_lo, s5
	v_cmp_gt_u32_e64 s7, 3, v10
	v_mov_b32_e32 v11, 0
	s_and_saveexec_b32 s5, s7
	s_cbranch_execz .LBB3_37
; %bb.36:
	ds_load_b32 v11, v2 offset:768
	s_wait_loadcnt_dscnt 0x0
	v_fma_f32 v11, v8, v11, 0
.LBB3_37:
	s_or_b32 exec_lo, exec_lo, s5
	s_wait_dscnt 0x0
	ds_bpermute_b32 v12, v3, v11
	v_cmp_eq_u32_e64 s39, 3, v10
	s_wait_dscnt 0x0
	v_add_f32_e32 v11, v11, v12
	ds_bpermute_b32 v12, v4, v11
	s_wait_dscnt 0x0
	v_add_f32_e32 v11, v11, v12
	ds_bpermute_b32 v12, v5, v11
	s_wait_dscnt 0x0
	v_add_f32_e32 v11, v11, v12
	;; [unrolled: 53-line block ×30, first 2 shown]
	ds_bpermute_b32 v12, v6, v11
	s_wait_dscnt 0x0
	v_add_f32_e32 v11, v11, v12
	ds_bpermute_b32 v12, v7, v11
	s_and_saveexec_b32 s67, s5
	s_cbranch_execz .LBB3_151
; %bb.150:
	s_wait_dscnt 0x0
	v_dual_mov_b32 v10, 0 :: v_dual_add_f32 v11, v11, v12
	ds_load_b32 v10, v10 offset:8060
	s_wait_loadcnt 0x0
	v_sub_f32_e32 v8, v8, v11
	s_wait_dscnt 0x0
	s_delay_alu instid0(VALU_DEP_1) | instskip(NEXT) | instid1(VALU_DEP_1)
	v_div_scale_f32 v11, null, v10, v10, v8
	v_rcp_f32_e32 v12, v11
	v_nop
	s_delay_alu instid0(TRANS32_DEP_1) | instskip(NEXT) | instid1(VALU_DEP_1)
	v_fma_f32 v13, -v11, v12, 1.0
	v_fmac_f32_e32 v12, v13, v12
	v_div_scale_f32 v13, vcc_lo, v8, v10, v8
	s_delay_alu instid0(VALU_DEP_1) | instskip(NEXT) | instid1(VALU_DEP_1)
	v_mul_f32_e32 v14, v13, v12
	v_fma_f32 v15, -v11, v14, v13
	s_delay_alu instid0(VALU_DEP_1) | instskip(NEXT) | instid1(VALU_DEP_1)
	v_fmac_f32_e32 v14, v15, v12
	v_fma_f32 v11, -v11, v14, v13
	s_delay_alu instid0(VALU_DEP_1) | instskip(NEXT) | instid1(VALU_DEP_1)
	v_div_fmas_f32 v11, v11, v12, v14
	v_div_fixup_f32 v8, v11, v10, v8
.LBB3_151:
	s_or_b32 exec_lo, exec_lo, s67
	ds_load_b32 v10, v2 offset:8192
	s_wait_loadcnt_dscnt 0x0
	v_mul_f32_e32 v11, v8, v10
	ds_bpermute_b32 v11, v3, v11
	s_wait_dscnt 0x0
	v_fmac_f32_e32 v11, v8, v10
	ds_bpermute_b32 v10, v4, v11
	s_wait_dscnt 0x0
	v_add_f32_e32 v10, v11, v10
	ds_bpermute_b32 v11, v5, v10
	s_wait_dscnt 0x0
	v_add_f32_e32 v10, v10, v11
	ds_bpermute_b32 v11, v6, v10
	s_wait_dscnt 0x0
	v_add_f32_e32 v10, v10, v11
	ds_bpermute_b32 v11, v7, v10
	s_and_saveexec_b32 s67, s4
	s_cbranch_execz .LBB3_153
; %bb.152:
	s_wait_dscnt 0x0
	v_dual_mov_b32 v12, 0 :: v_dual_add_f32 v10, v10, v11
	ds_load_b32 v12, v12 offset:8320
	v_sub_f32_e32 v9, v9, v10
	s_wait_dscnt 0x0
	s_delay_alu instid0(VALU_DEP_1) | instskip(NEXT) | instid1(VALU_DEP_1)
	v_div_scale_f32 v10, null, v12, v12, v9
	v_rcp_f32_e32 v11, v10
	v_nop
	s_delay_alu instid0(TRANS32_DEP_1) | instskip(NEXT) | instid1(VALU_DEP_1)
	v_fma_f32 v13, -v10, v11, 1.0
	v_fmac_f32_e32 v11, v13, v11
	v_div_scale_f32 v13, vcc_lo, v9, v12, v9
	s_delay_alu instid0(VALU_DEP_1) | instskip(NEXT) | instid1(VALU_DEP_1)
	v_mul_f32_e32 v14, v13, v11
	v_fma_f32 v15, -v10, v14, v13
	s_delay_alu instid0(VALU_DEP_1) | instskip(NEXT) | instid1(VALU_DEP_1)
	v_fmac_f32_e32 v14, v15, v11
	v_fma_f32 v10, -v10, v14, v13
	s_delay_alu instid0(VALU_DEP_1) | instskip(NEXT) | instid1(VALU_DEP_1)
	v_div_fmas_f32 v10, v10, v11, v14
	v_div_fixup_f32 v9, v10, v12, v9
.LBB3_153:
	s_or_b32 exec_lo, exec_lo, s67
	ds_load_b32 v10, v2 offset:8448
	s_wait_dscnt 0x0
	v_mul_f32_e32 v10, v8, v10
	s_and_saveexec_b32 s67, s4
	s_cbranch_execz .LBB3_155
; %bb.154:
	ds_load_b32 v11, v2 offset:8576
	s_wait_dscnt 0x0
	v_fmac_f32_e32 v10, v9, v11
.LBB3_155:
	s_or_b32 exec_lo, exec_lo, s67
	ds_bpermute_b32 v11, v3, v10
	s_wait_dscnt 0x0
	v_add_f32_e32 v10, v10, v11
	ds_bpermute_b32 v11, v4, v10
	s_wait_dscnt 0x0
	v_add_f32_e32 v10, v10, v11
	ds_bpermute_b32 v11, v5, v10
	s_wait_dscnt 0x0
	v_add_f32_e32 v10, v10, v11
	ds_bpermute_b32 v11, v6, v10
	s_wait_dscnt 0x0
	v_add_f32_e32 v10, v10, v11
	ds_bpermute_b32 v11, v7, v10
	s_and_saveexec_b32 s4, s37
	s_cbranch_execz .LBB3_157
; %bb.156:
	s_wait_dscnt 0x0
	v_dual_mov_b32 v12, 0 :: v_dual_add_f32 v10, v10, v11
	ds_load_b32 v12, v12 offset:8580
	v_sub_f32_e32 v9, v9, v10
	s_wait_dscnt 0x0
	s_delay_alu instid0(VALU_DEP_1) | instskip(NEXT) | instid1(VALU_DEP_1)
	v_div_scale_f32 v10, null, v12, v12, v9
	v_rcp_f32_e32 v11, v10
	v_nop
	s_delay_alu instid0(TRANS32_DEP_1) | instskip(NEXT) | instid1(VALU_DEP_1)
	v_fma_f32 v13, -v10, v11, 1.0
	v_fmac_f32_e32 v11, v13, v11
	v_div_scale_f32 v13, vcc_lo, v9, v12, v9
	s_delay_alu instid0(VALU_DEP_1) | instskip(NEXT) | instid1(VALU_DEP_1)
	v_mul_f32_e32 v14, v13, v11
	v_fma_f32 v15, -v10, v14, v13
	s_delay_alu instid0(VALU_DEP_1) | instskip(NEXT) | instid1(VALU_DEP_1)
	v_fmac_f32_e32 v14, v15, v11
	v_fma_f32 v10, -v10, v14, v13
	s_delay_alu instid0(VALU_DEP_1) | instskip(NEXT) | instid1(VALU_DEP_1)
	v_div_fmas_f32 v10, v10, v11, v14
	v_div_fixup_f32 v9, v10, v12, v9
.LBB3_157:
	s_or_b32 exec_lo, exec_lo, s4
	ds_load_b32 v10, v2 offset:8704
	s_wait_dscnt 0x0
	v_mul_f32_e32 v10, v8, v10
	s_and_saveexec_b32 s4, s6
	s_cbranch_execz .LBB3_159
; %bb.158:
	ds_load_b32 v11, v2 offset:8832
	s_wait_dscnt 0x0
	v_fmac_f32_e32 v10, v9, v11
.LBB3_159:
	s_or_b32 exec_lo, exec_lo, s4
	ds_bpermute_b32 v11, v3, v10
	s_wait_dscnt 0x0
	v_add_f32_e32 v10, v10, v11
	;; [unrolled: 51-line block ×30, first 2 shown]
	ds_bpermute_b32 v11, v4, v10
	s_wait_dscnt 0x0
	v_add_f32_e32 v10, v10, v11
	ds_bpermute_b32 v11, v5, v10
	s_wait_dscnt 0x0
	v_add_f32_e32 v10, v10, v11
	;; [unrolled: 3-line block ×3, first 2 shown]
	ds_bpermute_b32 v11, v7, v10
	s_and_saveexec_b32 s4, s66
	s_cbranch_execz .LBB3_273
; %bb.272:
	s_wait_dscnt 0x0
	v_dual_mov_b32 v12, 0 :: v_dual_add_f32 v10, v10, v11
	ds_load_b32 v12, v12 offset:16120
	v_sub_f32_e32 v9, v9, v10
	s_wait_dscnt 0x0
	s_delay_alu instid0(VALU_DEP_1) | instskip(NEXT) | instid1(VALU_DEP_1)
	v_div_scale_f32 v10, null, v12, v12, v9
	v_rcp_f32_e32 v11, v10
	v_nop
	s_delay_alu instid0(TRANS32_DEP_1) | instskip(NEXT) | instid1(VALU_DEP_1)
	v_fma_f32 v13, -v10, v11, 1.0
	v_fmac_f32_e32 v11, v13, v11
	v_div_scale_f32 v13, vcc_lo, v9, v12, v9
	s_delay_alu instid0(VALU_DEP_1) | instskip(NEXT) | instid1(VALU_DEP_1)
	v_mul_f32_e32 v14, v13, v11
	v_fma_f32 v15, -v10, v14, v13
	s_delay_alu instid0(VALU_DEP_1) | instskip(NEXT) | instid1(VALU_DEP_1)
	v_fmac_f32_e32 v14, v15, v11
	v_fma_f32 v10, -v10, v14, v13
	s_delay_alu instid0(VALU_DEP_1) | instskip(NEXT) | instid1(VALU_DEP_1)
	v_div_fmas_f32 v10, v10, v11, v14
	v_div_fixup_f32 v9, v10, v12, v9
.LBB3_273:
	s_or_b32 exec_lo, exec_lo, s4
	ds_load_b32 v10, v2 offset:16128
	s_wait_dscnt 0x0
	v_mul_f32_e32 v10, v8, v10
	s_and_saveexec_b32 s4, s36
	s_cbranch_execz .LBB3_275
; %bb.274:
	ds_load_b32 v2, v2 offset:16256
	s_wait_dscnt 0x0
	v_fmac_f32_e32 v10, v9, v2
.LBB3_275:
	s_or_b32 exec_lo, exec_lo, s4
	ds_bpermute_b32 v2, v3, v10
	s_load_b64 s[0:1], s[0:1], 0x10
	s_wait_dscnt 0x0
	v_add_f32_e32 v2, v10, v2
	ds_bpermute_b32 v3, v4, v2
	s_wait_dscnt 0x0
	v_add_f32_e32 v2, v2, v3
	ds_bpermute_b32 v3, v5, v2
	;; [unrolled: 3-line block ×4, first 2 shown]
	s_and_saveexec_b32 s4, s5
	s_cbranch_execz .LBB3_277
; %bb.276:
	s_wait_dscnt 0x0
	v_dual_mov_b32 v4, 0 :: v_dual_add_f32 v2, v2, v3
	ds_load_b32 v4, v4 offset:16380
	v_sub_f32_e32 v2, v9, v2
	s_wait_dscnt 0x0
	s_delay_alu instid0(VALU_DEP_1) | instskip(NEXT) | instid1(VALU_DEP_1)
	v_div_scale_f32 v3, null, v4, v4, v2
	v_rcp_f32_e32 v5, v3
	v_nop
	s_delay_alu instid0(TRANS32_DEP_1) | instskip(NEXT) | instid1(VALU_DEP_1)
	v_fma_f32 v6, -v3, v5, 1.0
	v_fmac_f32_e32 v5, v6, v5
	v_div_scale_f32 v6, vcc_lo, v2, v4, v2
	s_delay_alu instid0(VALU_DEP_1) | instskip(NEXT) | instid1(VALU_DEP_1)
	v_mul_f32_e32 v7, v6, v5
	v_fma_f32 v9, -v3, v7, v6
	s_delay_alu instid0(VALU_DEP_1) | instskip(NEXT) | instid1(VALU_DEP_1)
	v_fmac_f32_e32 v7, v9, v5
	v_fma_f32 v3, -v3, v7, v6
	s_delay_alu instid0(VALU_DEP_1) | instskip(NEXT) | instid1(VALU_DEP_1)
	v_div_fmas_f32 v3, v3, v5, v7
	v_div_fixup_f32 v9, v3, v4, v2
.LBB3_277:
	s_or_b32 exec_lo, exec_lo, s4
	s_mul_u64 s[4:5], s[68:69], s[72:73]
	s_mul_u64 s[6:7], s[70:71], s[74:75]
	s_lshl_b64 s[4:5], s[4:5], 2
	s_wait_kmcnt 0x0
	s_add_nc_u64 s[0:1], s[0:1], s[4:5]
	s_lshl_b64 s[4:5], s[6:7], 2
	s_delay_alu instid0(SALU_CYCLE_1)
	s_add_nc_u64 s[0:1], s[0:1], s[4:5]
	s_and_saveexec_b32 s4, s2
	s_cbranch_execz .LBB3_279
; %bb.278:
	v_cndmask_b32_e64 v2, v9, v8, s3
	global_store_b32 v0, v2, s[0:1] scale_offset
.LBB3_279:
	s_wait_xcnt 0x0
	s_or_b32 exec_lo, exec_lo, s4
	s_delay_alu instid0(SALU_CYCLE_1)
	s_and_b32 exec_lo, exec_lo, s3
	s_cbranch_execz .LBB3_281
; %bb.280:
	global_store_b32 v1, v9, s[0:1] scale_offset
.LBB3_281:
	s_endpgm
	.section	.rodata,"a",@progbits
	.p2align	6, 0x0
	.amdhsa_kernel _ZL18solve_tri_f32_fastILi64ELi14EEvPKfS1_Pf15HIP_vector_typeIjLj3EEmmmmmmii
		.amdhsa_group_segment_fixed_size 16384
		.amdhsa_private_segment_fixed_size 0
		.amdhsa_kernarg_size 352
		.amdhsa_user_sgpr_count 2
		.amdhsa_user_sgpr_dispatch_ptr 0
		.amdhsa_user_sgpr_queue_ptr 0
		.amdhsa_user_sgpr_kernarg_segment_ptr 1
		.amdhsa_user_sgpr_dispatch_id 0
		.amdhsa_user_sgpr_kernarg_preload_length 0
		.amdhsa_user_sgpr_kernarg_preload_offset 0
		.amdhsa_user_sgpr_private_segment_size 0
		.amdhsa_wavefront_size32 1
		.amdhsa_uses_dynamic_stack 0
		.amdhsa_enable_private_segment 0
		.amdhsa_system_sgpr_workgroup_id_x 1
		.amdhsa_system_sgpr_workgroup_id_y 0
		.amdhsa_system_sgpr_workgroup_id_z 0
		.amdhsa_system_sgpr_workgroup_info 0
		.amdhsa_system_vgpr_workitem_id 1
		.amdhsa_next_free_vgpr 17
		.amdhsa_next_free_sgpr 76
		.amdhsa_named_barrier_count 0
		.amdhsa_reserve_vcc 1
		.amdhsa_float_round_mode_32 0
		.amdhsa_float_round_mode_16_64 0
		.amdhsa_float_denorm_mode_32 3
		.amdhsa_float_denorm_mode_16_64 3
		.amdhsa_fp16_overflow 0
		.amdhsa_memory_ordered 1
		.amdhsa_forward_progress 1
		.amdhsa_inst_pref_size 139
		.amdhsa_round_robin_scheduling 0
		.amdhsa_exception_fp_ieee_invalid_op 0
		.amdhsa_exception_fp_denorm_src 0
		.amdhsa_exception_fp_ieee_div_zero 0
		.amdhsa_exception_fp_ieee_overflow 0
		.amdhsa_exception_fp_ieee_underflow 0
		.amdhsa_exception_fp_ieee_inexact 0
		.amdhsa_exception_int_div_zero 0
	.end_amdhsa_kernel
	.section	.text._ZL18solve_tri_f32_fastILi64ELi14EEvPKfS1_Pf15HIP_vector_typeIjLj3EEmmmmmmii,"axG",@progbits,_ZL18solve_tri_f32_fastILi64ELi14EEvPKfS1_Pf15HIP_vector_typeIjLj3EEmmmmmmii,comdat
.Lfunc_end3:
	.size	_ZL18solve_tri_f32_fastILi64ELi14EEvPKfS1_Pf15HIP_vector_typeIjLj3EEmmmmmmii, .Lfunc_end3-_ZL18solve_tri_f32_fastILi64ELi14EEvPKfS1_Pf15HIP_vector_typeIjLj3EEmmmmmmii
                                        ; -- End function
	.set _ZL18solve_tri_f32_fastILi64ELi14EEvPKfS1_Pf15HIP_vector_typeIjLj3EEmmmmmmii.num_vgpr, 17
	.set _ZL18solve_tri_f32_fastILi64ELi14EEvPKfS1_Pf15HIP_vector_typeIjLj3EEmmmmmmii.num_agpr, 0
	.set _ZL18solve_tri_f32_fastILi64ELi14EEvPKfS1_Pf15HIP_vector_typeIjLj3EEmmmmmmii.numbered_sgpr, 76
	.set _ZL18solve_tri_f32_fastILi64ELi14EEvPKfS1_Pf15HIP_vector_typeIjLj3EEmmmmmmii.num_named_barrier, 0
	.set _ZL18solve_tri_f32_fastILi64ELi14EEvPKfS1_Pf15HIP_vector_typeIjLj3EEmmmmmmii.private_seg_size, 0
	.set _ZL18solve_tri_f32_fastILi64ELi14EEvPKfS1_Pf15HIP_vector_typeIjLj3EEmmmmmmii.uses_vcc, 1
	.set _ZL18solve_tri_f32_fastILi64ELi14EEvPKfS1_Pf15HIP_vector_typeIjLj3EEmmmmmmii.uses_flat_scratch, 0
	.set _ZL18solve_tri_f32_fastILi64ELi14EEvPKfS1_Pf15HIP_vector_typeIjLj3EEmmmmmmii.has_dyn_sized_stack, 0
	.set _ZL18solve_tri_f32_fastILi64ELi14EEvPKfS1_Pf15HIP_vector_typeIjLj3EEmmmmmmii.has_recursion, 0
	.set _ZL18solve_tri_f32_fastILi64ELi14EEvPKfS1_Pf15HIP_vector_typeIjLj3EEmmmmmmii.has_indirect_call, 0
	.section	.AMDGPU.csdata,"",@progbits
; Kernel info:
; codeLenInByte = 17748
; TotalNumSgprs: 78
; NumVgprs: 17
; ScratchSize: 0
; MemoryBound: 0
; FloatMode: 240
; IeeeMode: 1
; LDSByteSize: 16384 bytes/workgroup (compile time only)
; SGPRBlocks: 0
; VGPRBlocks: 1
; NumSGPRsForWavesPerEU: 78
; NumVGPRsForWavesPerEU: 17
; NamedBarCnt: 0
; Occupancy: 16
; WaveLimiterHint : 0
; COMPUTE_PGM_RSRC2:SCRATCH_EN: 0
; COMPUTE_PGM_RSRC2:USER_SGPR: 2
; COMPUTE_PGM_RSRC2:TRAP_HANDLER: 0
; COMPUTE_PGM_RSRC2:TGID_X_EN: 1
; COMPUTE_PGM_RSRC2:TGID_Y_EN: 0
; COMPUTE_PGM_RSRC2:TGID_Z_EN: 0
; COMPUTE_PGM_RSRC2:TIDIG_COMP_CNT: 1
	.section	.text._ZL18solve_tri_f32_fastILi64ELi12EEvPKfS1_Pf15HIP_vector_typeIjLj3EEmmmmmmii,"axG",@progbits,_ZL18solve_tri_f32_fastILi64ELi12EEvPKfS1_Pf15HIP_vector_typeIjLj3EEmmmmmmii,comdat
	.globl	_ZL18solve_tri_f32_fastILi64ELi12EEvPKfS1_Pf15HIP_vector_typeIjLj3EEmmmmmmii ; -- Begin function _ZL18solve_tri_f32_fastILi64ELi12EEvPKfS1_Pf15HIP_vector_typeIjLj3EEmmmmmmii
	.p2align	8
	.type	_ZL18solve_tri_f32_fastILi64ELi12EEvPKfS1_Pf15HIP_vector_typeIjLj3EEmmmmmmii,@function
_ZL18solve_tri_f32_fastILi64ELi12EEvPKfS1_Pf15HIP_vector_typeIjLj3EEmmmmmmii: ; @_ZL18solve_tri_f32_fastILi64ELi12EEvPKfS1_Pf15HIP_vector_typeIjLj3EEmmmmmmii
; %bb.0:
	v_bfe_u32 v1, v0, 10, 10
	s_mov_b32 s2, exec_lo
	s_delay_alu instid0(VALU_DEP_1)
	v_cmpx_gt_u32_e32 12, v1
	s_cbranch_execz .LBB4_283
; %bb.1:
	s_clause 0x2
	s_load_b96 s[12:14], s[0:1], 0x18
	s_load_b32 s15, s[0:1], 0x6c
	s_load_b256 s[4:11], s[0:1], 0x28
	s_bfe_u32 s16, ttmp6, 0x4000c
	s_and_b32 s17, ttmp6, 15
	s_add_co_i32 s16, s16, 1
	s_load_b64 s[2:3], s[0:1], 0x0
	s_mul_i32 s16, ttmp9, s16
	s_getreg_b32 s18, hwreg(HW_REG_IB_STS2, 6, 4)
	s_add_co_i32 s17, s17, s16
	s_cmp_eq_u32 s18, 0
	v_and_b32_e32 v10, 0x3ff, v0
	s_cselect_b32 s16, ttmp9, s17
	s_mov_b32 s73, 0
	s_delay_alu instid0(SALU_CYCLE_1)
	s_mov_b32 s75, s73
	s_wait_kmcnt 0x0
	s_mul_hi_u32 s12, s12, s16
	s_and_b32 s15, s15, 0xffff
	s_add_co_i32 s12, s16, s12
	v_mad_u32_u24 v0, v1, s15, v10
	s_lshr_b32 s74, s12, s13
	s_delay_alu instid0(SALU_CYCLE_1) | instskip(SKIP_4) | instid1(SALU_CYCLE_1)
	s_mul_i32 s12, s74, s14
	s_mul_u64 s[6:7], s[6:7], s[74:75]
	s_sub_co_i32 s72, s16, s12
	v_lshlrev_b32_e32 v2, 2, v0
	s_mul_u64 s[4:5], s[4:5], s[72:73]
	s_lshl_b64 s[4:5], s[4:5], 2
	s_delay_alu instid0(SALU_CYCLE_1) | instskip(SKIP_1) | instid1(SALU_CYCLE_1)
	s_add_nc_u64 s[2:3], s[2:3], s[4:5]
	s_lshl_b64 s[4:5], s[6:7], 2
	s_add_nc_u64 s[2:3], s[2:3], s[4:5]
	s_mov_b32 s4, exec_lo
	v_cmpx_gt_u32_e32 0x1000, v0
	s_cbranch_execz .LBB4_3
; %bb.2:
	global_load_b32 v3, v0, s[2:3] scale_offset
	s_wait_loadcnt 0x0
	ds_store_b32 v2, v3
.LBB4_3:
	s_or_b32 exec_lo, exec_lo, s4
	s_delay_alu instid0(SALU_CYCLE_1)
	s_mov_b32 s4, exec_lo
	v_cmpx_gt_u32_e32 0xe80, v0
	s_cbranch_execz .LBB4_5
; %bb.4:
	global_load_b32 v3, v0, s[2:3] offset:1536 scale_offset
	s_wait_loadcnt 0x0
	ds_store_b32 v2, v3 offset:1536
.LBB4_5:
	s_or_b32 exec_lo, exec_lo, s4
	s_delay_alu instid0(SALU_CYCLE_1)
	s_mov_b32 s4, exec_lo
	v_cmpx_gt_u32_e32 0xd00, v0
	s_cbranch_execz .LBB4_7
; %bb.6:
	global_load_b32 v3, v0, s[2:3] offset:3072 scale_offset
	s_wait_loadcnt 0x0
	ds_store_b32 v2, v3 offset:3072
.LBB4_7:
	;; [unrolled: 10-line block ×7, first 2 shown]
	s_or_b32 exec_lo, exec_lo, s4
	s_load_b128 s[68:71], s[0:1], 0x48
	s_mov_b32 s4, exec_lo
	v_cmpx_gt_u32_e32 0x400, v0
	s_cbranch_execz .LBB4_19
; %bb.18:
	global_load_b32 v3, v0, s[2:3] offset:12288 scale_offset
	s_wait_loadcnt 0x0
	ds_store_b32 v2, v3 offset:12288
.LBB4_19:
	s_or_b32 exec_lo, exec_lo, s4
	s_delay_alu instid0(SALU_CYCLE_1)
	s_mov_b32 s4, exec_lo
	v_cmpx_gt_u32_e32 0x280, v0
	s_cbranch_execz .LBB4_21
; %bb.20:
	global_load_b32 v3, v0, s[2:3] offset:13824 scale_offset
	s_wait_loadcnt 0x0
	ds_store_b32 v2, v3 offset:13824
.LBB4_21:
	s_or_b32 exec_lo, exec_lo, s4
	s_load_b64 s[4:5], s[0:1], 0x8
	s_mov_b32 s6, exec_lo
	v_cmpx_gt_u32_e32 0x100, v0
	s_cbranch_execz .LBB4_23
; %bb.22:
	global_load_b32 v0, v0, s[2:3] offset:15360 scale_offset
	s_wait_loadcnt 0x0
	ds_store_b32 v2, v0 offset:15360
.LBB4_23:
	s_or_b32 exec_lo, exec_lo, s6
	s_mul_u64 s[2:3], s[8:9], s[72:73]
	s_mul_u64 s[6:7], s[10:11], s[74:75]
	s_lshl_b64 s[2:3], s[2:3], 2
	v_dual_mov_b32 v9, 0 :: v_dual_mov_b32 v8, 0
	s_wait_kmcnt 0x0
	s_add_nc_u64 s[4:5], s[4:5], s[2:3]
	v_cmp_gt_u32_e64 s2, 64, v10
	v_mad_u32_u24 v0, v10, 12, v1
	s_lshl_b64 s[6:7], s[6:7], 2
	s_wait_dscnt 0x0
	s_add_nc_u64 s[4:5], s[4:5], s[6:7]
	s_barrier_signal -1
	s_barrier_wait -1
	s_and_saveexec_b32 s3, s2
	s_cbranch_execz .LBB4_25
; %bb.24:
	global_load_b32 v8, v0, s[4:5] scale_offset
.LBB4_25:
	s_wait_xcnt 0x0
	s_or_b32 exec_lo, exec_lo, s3
	v_add_nc_u32_e32 v2, 32, v10
	v_cmp_gt_u32_e64 s3, 32, v10
	s_delay_alu instid0(VALU_DEP_2)
	v_mad_u32_u24 v1, v2, 12, v1
	s_and_saveexec_b32 s6, s3
	s_cbranch_execz .LBB4_27
; %bb.26:
	global_load_b32 v9, v1, s[4:5] scale_offset
.LBB4_27:
	s_wait_xcnt 0x0
	s_or_b32 exec_lo, exec_lo, s6
	v_cmp_eq_u32_e64 s4, 0, v10
	s_and_saveexec_b32 s5, s4
	s_cbranch_execz .LBB4_29
; %bb.28:
	v_mov_b32_e32 v2, 0
	ds_load_b32 v2, v2
	s_wait_loadcnt_dscnt 0x0
	v_div_scale_f32 v3, null, v2, v2, v8
	s_delay_alu instid0(VALU_DEP_1) | instskip(SKIP_1) | instid1(TRANS32_DEP_1)
	v_rcp_f32_e32 v4, v3
	v_nop
	v_fma_f32 v5, -v3, v4, 1.0
	s_delay_alu instid0(VALU_DEP_1) | instskip(SKIP_1) | instid1(VALU_DEP_1)
	v_fmac_f32_e32 v4, v5, v4
	v_div_scale_f32 v5, vcc_lo, v8, v2, v8
	v_mul_f32_e32 v6, v5, v4
	s_delay_alu instid0(VALU_DEP_1) | instskip(NEXT) | instid1(VALU_DEP_1)
	v_fma_f32 v7, -v3, v6, v5
	v_fmac_f32_e32 v6, v7, v4
	s_delay_alu instid0(VALU_DEP_1) | instskip(NEXT) | instid1(VALU_DEP_1)
	v_fma_f32 v3, -v3, v6, v5
	v_div_fmas_f32 v3, v3, v4, v6
	s_delay_alu instid0(VALU_DEP_1)
	v_div_fixup_f32 v8, v3, v2, v8
.LBB4_29:
	s_or_b32 exec_lo, exec_lo, s5
	v_dual_mov_b32 v5, 0 :: v_dual_lshlrev_b32 v2, 2, v10
	s_and_saveexec_b32 s5, s4
	s_cbranch_execz .LBB4_31
; %bb.30:
	ds_load_b32 v3, v2 offset:256
	s_wait_loadcnt_dscnt 0x0
	v_fma_f32 v5, v8, v3, 0
.LBB4_31:
	s_or_b32 exec_lo, exec_lo, s5
	v_mbcnt_lo_u32_b32 v7, -1, 0
	v_cmp_eq_u32_e64 s37, 1, v10
	s_delay_alu instid0(VALU_DEP_2) | instskip(SKIP_2) | instid1(VALU_DEP_2)
	v_xor_b32_e32 v4, 8, v7
	v_xor_b32_e32 v3, 16, v7
	;; [unrolled: 1-line block ×3, first 2 shown]
	v_cmp_gt_i32_e32 vcc_lo, 32, v3
	v_cndmask_b32_e32 v3, v7, v3, vcc_lo
	v_cmp_gt_i32_e32 vcc_lo, 32, v4
	v_cndmask_b32_e32 v4, v7, v4, vcc_lo
	s_delay_alu instid0(VALU_DEP_1)
	v_dual_lshlrev_b32 v4, 2, v4 :: v_dual_lshlrev_b32 v3, 2, v3
	ds_bpermute_b32 v6, v3, v5
	s_wait_dscnt 0x0
	v_add_f32_e32 v6, v5, v6
	ds_bpermute_b32 v11, v4, v6
	s_wait_dscnt 0x0
	v_add_f32_e32 v11, v6, v11
	v_xor_b32_e32 v6, 2, v7
	v_xor_b32_e32 v5, 4, v7
	s_delay_alu instid0(VALU_DEP_1) | instskip(SKIP_1) | instid1(VALU_DEP_4)
	v_cmp_gt_i32_e32 vcc_lo, 32, v5
	v_cndmask_b32_e32 v5, v7, v5, vcc_lo
	v_cmp_gt_i32_e32 vcc_lo, 32, v6
	s_delay_alu instid0(VALU_DEP_2) | instskip(SKIP_1) | instid1(VALU_DEP_2)
	v_dual_cndmask_b32 v6, v7, v6 :: v_dual_lshlrev_b32 v5, 2, v5
	v_cmp_gt_i32_e32 vcc_lo, 32, v13
	v_dual_cndmask_b32 v7, v7, v13 :: v_dual_lshlrev_b32 v6, 2, v6
	ds_bpermute_b32 v12, v5, v11
	s_wait_dscnt 0x0
	v_dual_lshlrev_b32 v7, 2, v7 :: v_dual_add_f32 v11, v11, v12
	ds_bpermute_b32 v12, v6, v11
	s_wait_dscnt 0x0
	v_add_f32_e32 v11, v11, v12
	ds_bpermute_b32 v12, v7, v11
	s_and_saveexec_b32 s5, s37
	s_cbranch_execz .LBB4_33
; %bb.32:
	s_wait_dscnt 0x0
	v_dual_mov_b32 v13, 0 :: v_dual_add_f32 v11, v11, v12
	ds_load_b32 v13, v13 offset:260
	s_wait_loadcnt 0x0
	v_sub_f32_e32 v8, v8, v11
	s_wait_dscnt 0x0
	s_delay_alu instid0(VALU_DEP_1) | instskip(NEXT) | instid1(VALU_DEP_1)
	v_div_scale_f32 v11, null, v13, v13, v8
	v_rcp_f32_e32 v12, v11
	v_nop
	s_delay_alu instid0(TRANS32_DEP_1) | instskip(NEXT) | instid1(VALU_DEP_1)
	v_fma_f32 v14, -v11, v12, 1.0
	v_fmac_f32_e32 v12, v14, v12
	v_div_scale_f32 v14, vcc_lo, v8, v13, v8
	s_delay_alu instid0(VALU_DEP_1) | instskip(NEXT) | instid1(VALU_DEP_1)
	v_mul_f32_e32 v15, v14, v12
	v_fma_f32 v16, -v11, v15, v14
	s_delay_alu instid0(VALU_DEP_1) | instskip(NEXT) | instid1(VALU_DEP_1)
	v_fmac_f32_e32 v15, v16, v12
	v_fma_f32 v11, -v11, v15, v14
	s_delay_alu instid0(VALU_DEP_1) | instskip(NEXT) | instid1(VALU_DEP_1)
	v_div_fmas_f32 v11, v11, v12, v15
	v_div_fixup_f32 v8, v11, v13, v8
.LBB4_33:
	s_or_b32 exec_lo, exec_lo, s5
	v_cmp_gt_u32_e64 s6, 2, v10
	v_mov_b32_e32 v11, 0
	s_and_saveexec_b32 s5, s6
	s_cbranch_execz .LBB4_35
; %bb.34:
	ds_load_b32 v11, v2 offset:512
	s_wait_loadcnt_dscnt 0x0
	v_fma_f32 v11, v8, v11, 0
.LBB4_35:
	s_or_b32 exec_lo, exec_lo, s5
	s_wait_dscnt 0x0
	ds_bpermute_b32 v12, v3, v11
	v_cmp_eq_u32_e64 s38, 2, v10
	s_wait_dscnt 0x0
	v_add_f32_e32 v11, v11, v12
	ds_bpermute_b32 v12, v4, v11
	s_wait_dscnt 0x0
	v_add_f32_e32 v11, v11, v12
	ds_bpermute_b32 v12, v5, v11
	s_wait_dscnt 0x0
	v_add_f32_e32 v11, v11, v12
	ds_bpermute_b32 v12, v6, v11
	s_wait_dscnt 0x0
	v_add_f32_e32 v11, v11, v12
	ds_bpermute_b32 v12, v7, v11
	s_and_saveexec_b32 s5, s38
	s_cbranch_execz .LBB4_37
; %bb.36:
	s_wait_dscnt 0x0
	v_dual_mov_b32 v13, 0 :: v_dual_add_f32 v11, v11, v12
	ds_load_b32 v13, v13 offset:520
	s_wait_loadcnt 0x0
	v_sub_f32_e32 v8, v8, v11
	s_wait_dscnt 0x0
	s_delay_alu instid0(VALU_DEP_1) | instskip(NEXT) | instid1(VALU_DEP_1)
	v_div_scale_f32 v11, null, v13, v13, v8
	v_rcp_f32_e32 v12, v11
	v_nop
	s_delay_alu instid0(TRANS32_DEP_1) | instskip(NEXT) | instid1(VALU_DEP_1)
	v_fma_f32 v14, -v11, v12, 1.0
	v_fmac_f32_e32 v12, v14, v12
	v_div_scale_f32 v14, vcc_lo, v8, v13, v8
	s_delay_alu instid0(VALU_DEP_1) | instskip(NEXT) | instid1(VALU_DEP_1)
	v_mul_f32_e32 v15, v14, v12
	v_fma_f32 v16, -v11, v15, v14
	s_delay_alu instid0(VALU_DEP_1) | instskip(NEXT) | instid1(VALU_DEP_1)
	v_fmac_f32_e32 v15, v16, v12
	v_fma_f32 v11, -v11, v15, v14
	s_delay_alu instid0(VALU_DEP_1) | instskip(NEXT) | instid1(VALU_DEP_1)
	v_div_fmas_f32 v11, v11, v12, v15
	v_div_fixup_f32 v8, v11, v13, v8
.LBB4_37:
	s_or_b32 exec_lo, exec_lo, s5
	v_cmp_gt_u32_e64 s7, 3, v10
	v_mov_b32_e32 v11, 0
	s_and_saveexec_b32 s5, s7
	s_cbranch_execz .LBB4_39
; %bb.38:
	ds_load_b32 v11, v2 offset:768
	s_wait_loadcnt_dscnt 0x0
	v_fma_f32 v11, v8, v11, 0
.LBB4_39:
	s_or_b32 exec_lo, exec_lo, s5
	s_wait_dscnt 0x0
	ds_bpermute_b32 v12, v3, v11
	v_cmp_eq_u32_e64 s39, 3, v10
	s_wait_dscnt 0x0
	v_add_f32_e32 v11, v11, v12
	ds_bpermute_b32 v12, v4, v11
	s_wait_dscnt 0x0
	v_add_f32_e32 v11, v11, v12
	ds_bpermute_b32 v12, v5, v11
	s_wait_dscnt 0x0
	v_add_f32_e32 v11, v11, v12
	ds_bpermute_b32 v12, v6, v11
	s_wait_dscnt 0x0
	v_add_f32_e32 v11, v11, v12
	ds_bpermute_b32 v12, v7, v11
	s_and_saveexec_b32 s5, s39
	s_cbranch_execz .LBB4_41
; %bb.40:
	s_wait_dscnt 0x0
	v_dual_mov_b32 v13, 0 :: v_dual_add_f32 v11, v11, v12
	ds_load_b32 v13, v13 offset:780
	s_wait_loadcnt 0x0
	v_sub_f32_e32 v8, v8, v11
	s_wait_dscnt 0x0
	s_delay_alu instid0(VALU_DEP_1) | instskip(NEXT) | instid1(VALU_DEP_1)
	v_div_scale_f32 v11, null, v13, v13, v8
	v_rcp_f32_e32 v12, v11
	v_nop
	s_delay_alu instid0(TRANS32_DEP_1) | instskip(NEXT) | instid1(VALU_DEP_1)
	v_fma_f32 v14, -v11, v12, 1.0
	v_fmac_f32_e32 v12, v14, v12
	v_div_scale_f32 v14, vcc_lo, v8, v13, v8
	s_delay_alu instid0(VALU_DEP_1) | instskip(NEXT) | instid1(VALU_DEP_1)
	v_mul_f32_e32 v15, v14, v12
	v_fma_f32 v16, -v11, v15, v14
	s_delay_alu instid0(VALU_DEP_1) | instskip(NEXT) | instid1(VALU_DEP_1)
	v_fmac_f32_e32 v15, v16, v12
	v_fma_f32 v11, -v11, v15, v14
	s_delay_alu instid0(VALU_DEP_1) | instskip(NEXT) | instid1(VALU_DEP_1)
	v_div_fmas_f32 v11, v11, v12, v15
	v_div_fixup_f32 v8, v11, v13, v8
.LBB4_41:
	s_or_b32 exec_lo, exec_lo, s5
	v_cmp_gt_u32_e64 s8, 4, v10
	v_mov_b32_e32 v11, 0
	s_and_saveexec_b32 s5, s8
	s_cbranch_execz .LBB4_43
; %bb.42:
	ds_load_b32 v11, v2 offset:1024
	s_wait_loadcnt_dscnt 0x0
	v_fma_f32 v11, v8, v11, 0
.LBB4_43:
	s_or_b32 exec_lo, exec_lo, s5
	s_wait_dscnt 0x0
	ds_bpermute_b32 v12, v3, v11
	v_cmp_eq_u32_e64 s40, 4, v10
	s_wait_dscnt 0x0
	v_add_f32_e32 v11, v11, v12
	ds_bpermute_b32 v12, v4, v11
	s_wait_dscnt 0x0
	v_add_f32_e32 v11, v11, v12
	ds_bpermute_b32 v12, v5, v11
	s_wait_dscnt 0x0
	v_add_f32_e32 v11, v11, v12
	ds_bpermute_b32 v12, v6, v11
	s_wait_dscnt 0x0
	v_add_f32_e32 v11, v11, v12
	ds_bpermute_b32 v12, v7, v11
	s_and_saveexec_b32 s5, s40
	s_cbranch_execz .LBB4_45
; %bb.44:
	s_wait_dscnt 0x0
	v_dual_mov_b32 v13, 0 :: v_dual_add_f32 v11, v11, v12
	ds_load_b32 v13, v13 offset:1040
	s_wait_loadcnt 0x0
	v_sub_f32_e32 v8, v8, v11
	s_wait_dscnt 0x0
	s_delay_alu instid0(VALU_DEP_1) | instskip(NEXT) | instid1(VALU_DEP_1)
	v_div_scale_f32 v11, null, v13, v13, v8
	v_rcp_f32_e32 v12, v11
	v_nop
	s_delay_alu instid0(TRANS32_DEP_1) | instskip(NEXT) | instid1(VALU_DEP_1)
	v_fma_f32 v14, -v11, v12, 1.0
	v_fmac_f32_e32 v12, v14, v12
	v_div_scale_f32 v14, vcc_lo, v8, v13, v8
	s_delay_alu instid0(VALU_DEP_1) | instskip(NEXT) | instid1(VALU_DEP_1)
	v_mul_f32_e32 v15, v14, v12
	v_fma_f32 v16, -v11, v15, v14
	s_delay_alu instid0(VALU_DEP_1) | instskip(NEXT) | instid1(VALU_DEP_1)
	v_fmac_f32_e32 v15, v16, v12
	v_fma_f32 v11, -v11, v15, v14
	s_delay_alu instid0(VALU_DEP_1) | instskip(NEXT) | instid1(VALU_DEP_1)
	v_div_fmas_f32 v11, v11, v12, v15
	v_div_fixup_f32 v8, v11, v13, v8
.LBB4_45:
	s_or_b32 exec_lo, exec_lo, s5
	v_cmp_gt_u32_e64 s9, 5, v10
	v_mov_b32_e32 v11, 0
	s_and_saveexec_b32 s5, s9
	s_cbranch_execz .LBB4_47
; %bb.46:
	ds_load_b32 v11, v2 offset:1280
	s_wait_loadcnt_dscnt 0x0
	v_fma_f32 v11, v8, v11, 0
.LBB4_47:
	s_or_b32 exec_lo, exec_lo, s5
	s_wait_dscnt 0x0
	ds_bpermute_b32 v12, v3, v11
	v_cmp_eq_u32_e64 s41, 5, v10
	s_wait_dscnt 0x0
	v_add_f32_e32 v11, v11, v12
	ds_bpermute_b32 v12, v4, v11
	s_wait_dscnt 0x0
	v_add_f32_e32 v11, v11, v12
	ds_bpermute_b32 v12, v5, v11
	s_wait_dscnt 0x0
	v_add_f32_e32 v11, v11, v12
	ds_bpermute_b32 v12, v6, v11
	s_wait_dscnt 0x0
	v_add_f32_e32 v11, v11, v12
	ds_bpermute_b32 v12, v7, v11
	s_and_saveexec_b32 s5, s41
	s_cbranch_execz .LBB4_49
; %bb.48:
	s_wait_dscnt 0x0
	v_dual_mov_b32 v13, 0 :: v_dual_add_f32 v11, v11, v12
	ds_load_b32 v13, v13 offset:1300
	s_wait_loadcnt 0x0
	v_sub_f32_e32 v8, v8, v11
	s_wait_dscnt 0x0
	s_delay_alu instid0(VALU_DEP_1) | instskip(NEXT) | instid1(VALU_DEP_1)
	v_div_scale_f32 v11, null, v13, v13, v8
	v_rcp_f32_e32 v12, v11
	v_nop
	s_delay_alu instid0(TRANS32_DEP_1) | instskip(NEXT) | instid1(VALU_DEP_1)
	v_fma_f32 v14, -v11, v12, 1.0
	v_fmac_f32_e32 v12, v14, v12
	v_div_scale_f32 v14, vcc_lo, v8, v13, v8
	s_delay_alu instid0(VALU_DEP_1) | instskip(NEXT) | instid1(VALU_DEP_1)
	v_mul_f32_e32 v15, v14, v12
	v_fma_f32 v16, -v11, v15, v14
	s_delay_alu instid0(VALU_DEP_1) | instskip(NEXT) | instid1(VALU_DEP_1)
	v_fmac_f32_e32 v15, v16, v12
	v_fma_f32 v11, -v11, v15, v14
	s_delay_alu instid0(VALU_DEP_1) | instskip(NEXT) | instid1(VALU_DEP_1)
	v_div_fmas_f32 v11, v11, v12, v15
	v_div_fixup_f32 v8, v11, v13, v8
.LBB4_49:
	s_or_b32 exec_lo, exec_lo, s5
	v_cmp_gt_u32_e64 s10, 6, v10
	v_mov_b32_e32 v11, 0
	s_and_saveexec_b32 s5, s10
	s_cbranch_execz .LBB4_51
; %bb.50:
	ds_load_b32 v11, v2 offset:1536
	s_wait_loadcnt_dscnt 0x0
	v_fma_f32 v11, v8, v11, 0
.LBB4_51:
	s_or_b32 exec_lo, exec_lo, s5
	s_wait_dscnt 0x0
	ds_bpermute_b32 v12, v3, v11
	v_cmp_eq_u32_e64 s42, 6, v10
	s_wait_dscnt 0x0
	v_add_f32_e32 v11, v11, v12
	ds_bpermute_b32 v12, v4, v11
	s_wait_dscnt 0x0
	v_add_f32_e32 v11, v11, v12
	ds_bpermute_b32 v12, v5, v11
	s_wait_dscnt 0x0
	v_add_f32_e32 v11, v11, v12
	ds_bpermute_b32 v12, v6, v11
	s_wait_dscnt 0x0
	v_add_f32_e32 v11, v11, v12
	ds_bpermute_b32 v12, v7, v11
	s_and_saveexec_b32 s5, s42
	s_cbranch_execz .LBB4_53
; %bb.52:
	s_wait_dscnt 0x0
	v_dual_mov_b32 v13, 0 :: v_dual_add_f32 v11, v11, v12
	ds_load_b32 v13, v13 offset:1560
	s_wait_loadcnt 0x0
	v_sub_f32_e32 v8, v8, v11
	s_wait_dscnt 0x0
	s_delay_alu instid0(VALU_DEP_1) | instskip(NEXT) | instid1(VALU_DEP_1)
	v_div_scale_f32 v11, null, v13, v13, v8
	v_rcp_f32_e32 v12, v11
	v_nop
	s_delay_alu instid0(TRANS32_DEP_1) | instskip(NEXT) | instid1(VALU_DEP_1)
	v_fma_f32 v14, -v11, v12, 1.0
	v_fmac_f32_e32 v12, v14, v12
	v_div_scale_f32 v14, vcc_lo, v8, v13, v8
	s_delay_alu instid0(VALU_DEP_1) | instskip(NEXT) | instid1(VALU_DEP_1)
	v_mul_f32_e32 v15, v14, v12
	v_fma_f32 v16, -v11, v15, v14
	s_delay_alu instid0(VALU_DEP_1) | instskip(NEXT) | instid1(VALU_DEP_1)
	v_fmac_f32_e32 v15, v16, v12
	v_fma_f32 v11, -v11, v15, v14
	s_delay_alu instid0(VALU_DEP_1) | instskip(NEXT) | instid1(VALU_DEP_1)
	v_div_fmas_f32 v11, v11, v12, v15
	v_div_fixup_f32 v8, v11, v13, v8
.LBB4_53:
	s_or_b32 exec_lo, exec_lo, s5
	v_cmp_gt_u32_e64 s11, 7, v10
	v_mov_b32_e32 v11, 0
	s_and_saveexec_b32 s5, s11
	s_cbranch_execz .LBB4_55
; %bb.54:
	ds_load_b32 v11, v2 offset:1792
	s_wait_loadcnt_dscnt 0x0
	v_fma_f32 v11, v8, v11, 0
.LBB4_55:
	s_or_b32 exec_lo, exec_lo, s5
	s_wait_dscnt 0x0
	ds_bpermute_b32 v12, v3, v11
	v_cmp_eq_u32_e64 s43, 7, v10
	s_wait_dscnt 0x0
	v_add_f32_e32 v11, v11, v12
	ds_bpermute_b32 v12, v4, v11
	s_wait_dscnt 0x0
	v_add_f32_e32 v11, v11, v12
	ds_bpermute_b32 v12, v5, v11
	s_wait_dscnt 0x0
	v_add_f32_e32 v11, v11, v12
	ds_bpermute_b32 v12, v6, v11
	s_wait_dscnt 0x0
	v_add_f32_e32 v11, v11, v12
	ds_bpermute_b32 v12, v7, v11
	s_and_saveexec_b32 s5, s43
	s_cbranch_execz .LBB4_57
; %bb.56:
	s_wait_dscnt 0x0
	v_dual_mov_b32 v13, 0 :: v_dual_add_f32 v11, v11, v12
	ds_load_b32 v13, v13 offset:1820
	s_wait_loadcnt 0x0
	v_sub_f32_e32 v8, v8, v11
	s_wait_dscnt 0x0
	s_delay_alu instid0(VALU_DEP_1) | instskip(NEXT) | instid1(VALU_DEP_1)
	v_div_scale_f32 v11, null, v13, v13, v8
	v_rcp_f32_e32 v12, v11
	v_nop
	s_delay_alu instid0(TRANS32_DEP_1) | instskip(NEXT) | instid1(VALU_DEP_1)
	v_fma_f32 v14, -v11, v12, 1.0
	v_fmac_f32_e32 v12, v14, v12
	v_div_scale_f32 v14, vcc_lo, v8, v13, v8
	s_delay_alu instid0(VALU_DEP_1) | instskip(NEXT) | instid1(VALU_DEP_1)
	v_mul_f32_e32 v15, v14, v12
	v_fma_f32 v16, -v11, v15, v14
	s_delay_alu instid0(VALU_DEP_1) | instskip(NEXT) | instid1(VALU_DEP_1)
	v_fmac_f32_e32 v15, v16, v12
	v_fma_f32 v11, -v11, v15, v14
	s_delay_alu instid0(VALU_DEP_1) | instskip(NEXT) | instid1(VALU_DEP_1)
	v_div_fmas_f32 v11, v11, v12, v15
	v_div_fixup_f32 v8, v11, v13, v8
.LBB4_57:
	s_or_b32 exec_lo, exec_lo, s5
	v_cmp_gt_u32_e64 s12, 8, v10
	v_mov_b32_e32 v11, 0
	s_and_saveexec_b32 s5, s12
	s_cbranch_execz .LBB4_59
; %bb.58:
	ds_load_b32 v11, v2 offset:2048
	s_wait_loadcnt_dscnt 0x0
	v_fma_f32 v11, v8, v11, 0
.LBB4_59:
	s_or_b32 exec_lo, exec_lo, s5
	s_wait_dscnt 0x0
	ds_bpermute_b32 v12, v3, v11
	v_cmp_eq_u32_e64 s44, 8, v10
	s_wait_dscnt 0x0
	v_add_f32_e32 v11, v11, v12
	ds_bpermute_b32 v12, v4, v11
	s_wait_dscnt 0x0
	v_add_f32_e32 v11, v11, v12
	ds_bpermute_b32 v12, v5, v11
	s_wait_dscnt 0x0
	v_add_f32_e32 v11, v11, v12
	ds_bpermute_b32 v12, v6, v11
	s_wait_dscnt 0x0
	v_add_f32_e32 v11, v11, v12
	ds_bpermute_b32 v12, v7, v11
	s_and_saveexec_b32 s5, s44
	s_cbranch_execz .LBB4_61
; %bb.60:
	s_wait_dscnt 0x0
	v_dual_mov_b32 v13, 0 :: v_dual_add_f32 v11, v11, v12
	ds_load_b32 v13, v13 offset:2080
	s_wait_loadcnt 0x0
	v_sub_f32_e32 v8, v8, v11
	s_wait_dscnt 0x0
	s_delay_alu instid0(VALU_DEP_1) | instskip(NEXT) | instid1(VALU_DEP_1)
	v_div_scale_f32 v11, null, v13, v13, v8
	v_rcp_f32_e32 v12, v11
	v_nop
	s_delay_alu instid0(TRANS32_DEP_1) | instskip(NEXT) | instid1(VALU_DEP_1)
	v_fma_f32 v14, -v11, v12, 1.0
	v_fmac_f32_e32 v12, v14, v12
	v_div_scale_f32 v14, vcc_lo, v8, v13, v8
	s_delay_alu instid0(VALU_DEP_1) | instskip(NEXT) | instid1(VALU_DEP_1)
	v_mul_f32_e32 v15, v14, v12
	v_fma_f32 v16, -v11, v15, v14
	s_delay_alu instid0(VALU_DEP_1) | instskip(NEXT) | instid1(VALU_DEP_1)
	v_fmac_f32_e32 v15, v16, v12
	v_fma_f32 v11, -v11, v15, v14
	s_delay_alu instid0(VALU_DEP_1) | instskip(NEXT) | instid1(VALU_DEP_1)
	v_div_fmas_f32 v11, v11, v12, v15
	v_div_fixup_f32 v8, v11, v13, v8
.LBB4_61:
	s_or_b32 exec_lo, exec_lo, s5
	v_cmp_gt_u32_e64 s13, 9, v10
	v_mov_b32_e32 v11, 0
	s_and_saveexec_b32 s5, s13
	s_cbranch_execz .LBB4_63
; %bb.62:
	ds_load_b32 v11, v2 offset:2304
	s_wait_loadcnt_dscnt 0x0
	v_fma_f32 v11, v8, v11, 0
.LBB4_63:
	s_or_b32 exec_lo, exec_lo, s5
	s_wait_dscnt 0x0
	ds_bpermute_b32 v12, v3, v11
	v_cmp_eq_u32_e64 s45, 9, v10
	s_wait_dscnt 0x0
	v_add_f32_e32 v11, v11, v12
	ds_bpermute_b32 v12, v4, v11
	s_wait_dscnt 0x0
	v_add_f32_e32 v11, v11, v12
	ds_bpermute_b32 v12, v5, v11
	s_wait_dscnt 0x0
	v_add_f32_e32 v11, v11, v12
	ds_bpermute_b32 v12, v6, v11
	s_wait_dscnt 0x0
	v_add_f32_e32 v11, v11, v12
	ds_bpermute_b32 v12, v7, v11
	s_and_saveexec_b32 s5, s45
	s_cbranch_execz .LBB4_65
; %bb.64:
	s_wait_dscnt 0x0
	v_dual_mov_b32 v13, 0 :: v_dual_add_f32 v11, v11, v12
	ds_load_b32 v13, v13 offset:2340
	s_wait_loadcnt 0x0
	v_sub_f32_e32 v8, v8, v11
	s_wait_dscnt 0x0
	s_delay_alu instid0(VALU_DEP_1) | instskip(NEXT) | instid1(VALU_DEP_1)
	v_div_scale_f32 v11, null, v13, v13, v8
	v_rcp_f32_e32 v12, v11
	v_nop
	s_delay_alu instid0(TRANS32_DEP_1) | instskip(NEXT) | instid1(VALU_DEP_1)
	v_fma_f32 v14, -v11, v12, 1.0
	v_fmac_f32_e32 v12, v14, v12
	v_div_scale_f32 v14, vcc_lo, v8, v13, v8
	s_delay_alu instid0(VALU_DEP_1) | instskip(NEXT) | instid1(VALU_DEP_1)
	v_mul_f32_e32 v15, v14, v12
	v_fma_f32 v16, -v11, v15, v14
	s_delay_alu instid0(VALU_DEP_1) | instskip(NEXT) | instid1(VALU_DEP_1)
	v_fmac_f32_e32 v15, v16, v12
	v_fma_f32 v11, -v11, v15, v14
	s_delay_alu instid0(VALU_DEP_1) | instskip(NEXT) | instid1(VALU_DEP_1)
	v_div_fmas_f32 v11, v11, v12, v15
	v_div_fixup_f32 v8, v11, v13, v8
.LBB4_65:
	s_or_b32 exec_lo, exec_lo, s5
	v_cmp_gt_u32_e64 s14, 10, v10
	v_mov_b32_e32 v11, 0
	s_and_saveexec_b32 s5, s14
	s_cbranch_execz .LBB4_67
; %bb.66:
	ds_load_b32 v11, v2 offset:2560
	s_wait_loadcnt_dscnt 0x0
	v_fma_f32 v11, v8, v11, 0
.LBB4_67:
	s_or_b32 exec_lo, exec_lo, s5
	s_wait_dscnt 0x0
	ds_bpermute_b32 v12, v3, v11
	v_cmp_eq_u32_e64 s46, 10, v10
	s_wait_dscnt 0x0
	v_add_f32_e32 v11, v11, v12
	ds_bpermute_b32 v12, v4, v11
	s_wait_dscnt 0x0
	v_add_f32_e32 v11, v11, v12
	ds_bpermute_b32 v12, v5, v11
	s_wait_dscnt 0x0
	v_add_f32_e32 v11, v11, v12
	ds_bpermute_b32 v12, v6, v11
	s_wait_dscnt 0x0
	v_add_f32_e32 v11, v11, v12
	ds_bpermute_b32 v12, v7, v11
	s_and_saveexec_b32 s5, s46
	s_cbranch_execz .LBB4_69
; %bb.68:
	s_wait_dscnt 0x0
	v_dual_mov_b32 v13, 0 :: v_dual_add_f32 v11, v11, v12
	ds_load_b32 v13, v13 offset:2600
	s_wait_loadcnt 0x0
	v_sub_f32_e32 v8, v8, v11
	s_wait_dscnt 0x0
	s_delay_alu instid0(VALU_DEP_1) | instskip(NEXT) | instid1(VALU_DEP_1)
	v_div_scale_f32 v11, null, v13, v13, v8
	v_rcp_f32_e32 v12, v11
	v_nop
	s_delay_alu instid0(TRANS32_DEP_1) | instskip(NEXT) | instid1(VALU_DEP_1)
	v_fma_f32 v14, -v11, v12, 1.0
	v_fmac_f32_e32 v12, v14, v12
	v_div_scale_f32 v14, vcc_lo, v8, v13, v8
	s_delay_alu instid0(VALU_DEP_1) | instskip(NEXT) | instid1(VALU_DEP_1)
	v_mul_f32_e32 v15, v14, v12
	v_fma_f32 v16, -v11, v15, v14
	s_delay_alu instid0(VALU_DEP_1) | instskip(NEXT) | instid1(VALU_DEP_1)
	v_fmac_f32_e32 v15, v16, v12
	v_fma_f32 v11, -v11, v15, v14
	s_delay_alu instid0(VALU_DEP_1) | instskip(NEXT) | instid1(VALU_DEP_1)
	v_div_fmas_f32 v11, v11, v12, v15
	v_div_fixup_f32 v8, v11, v13, v8
.LBB4_69:
	s_or_b32 exec_lo, exec_lo, s5
	v_cmp_gt_u32_e64 s15, 11, v10
	v_mov_b32_e32 v11, 0
	s_and_saveexec_b32 s5, s15
	s_cbranch_execz .LBB4_71
; %bb.70:
	ds_load_b32 v11, v2 offset:2816
	s_wait_loadcnt_dscnt 0x0
	v_fma_f32 v11, v8, v11, 0
.LBB4_71:
	s_or_b32 exec_lo, exec_lo, s5
	s_wait_dscnt 0x0
	ds_bpermute_b32 v12, v3, v11
	v_cmp_eq_u32_e64 s47, 11, v10
	s_wait_dscnt 0x0
	v_add_f32_e32 v11, v11, v12
	ds_bpermute_b32 v12, v4, v11
	s_wait_dscnt 0x0
	v_add_f32_e32 v11, v11, v12
	ds_bpermute_b32 v12, v5, v11
	s_wait_dscnt 0x0
	v_add_f32_e32 v11, v11, v12
	ds_bpermute_b32 v12, v6, v11
	s_wait_dscnt 0x0
	v_add_f32_e32 v11, v11, v12
	ds_bpermute_b32 v12, v7, v11
	s_and_saveexec_b32 s5, s47
	s_cbranch_execz .LBB4_73
; %bb.72:
	s_wait_dscnt 0x0
	v_dual_mov_b32 v13, 0 :: v_dual_add_f32 v11, v11, v12
	ds_load_b32 v13, v13 offset:2860
	s_wait_loadcnt 0x0
	v_sub_f32_e32 v8, v8, v11
	s_wait_dscnt 0x0
	s_delay_alu instid0(VALU_DEP_1) | instskip(NEXT) | instid1(VALU_DEP_1)
	v_div_scale_f32 v11, null, v13, v13, v8
	v_rcp_f32_e32 v12, v11
	v_nop
	s_delay_alu instid0(TRANS32_DEP_1) | instskip(NEXT) | instid1(VALU_DEP_1)
	v_fma_f32 v14, -v11, v12, 1.0
	v_fmac_f32_e32 v12, v14, v12
	v_div_scale_f32 v14, vcc_lo, v8, v13, v8
	s_delay_alu instid0(VALU_DEP_1) | instskip(NEXT) | instid1(VALU_DEP_1)
	v_mul_f32_e32 v15, v14, v12
	v_fma_f32 v16, -v11, v15, v14
	s_delay_alu instid0(VALU_DEP_1) | instskip(NEXT) | instid1(VALU_DEP_1)
	v_fmac_f32_e32 v15, v16, v12
	v_fma_f32 v11, -v11, v15, v14
	s_delay_alu instid0(VALU_DEP_1) | instskip(NEXT) | instid1(VALU_DEP_1)
	v_div_fmas_f32 v11, v11, v12, v15
	v_div_fixup_f32 v8, v11, v13, v8
.LBB4_73:
	s_or_b32 exec_lo, exec_lo, s5
	v_cmp_gt_u32_e64 s16, 12, v10
	v_mov_b32_e32 v11, 0
	s_and_saveexec_b32 s5, s16
	s_cbranch_execz .LBB4_75
; %bb.74:
	ds_load_b32 v11, v2 offset:3072
	s_wait_loadcnt_dscnt 0x0
	v_fma_f32 v11, v8, v11, 0
.LBB4_75:
	s_or_b32 exec_lo, exec_lo, s5
	s_wait_dscnt 0x0
	ds_bpermute_b32 v12, v3, v11
	v_cmp_eq_u32_e64 s48, 12, v10
	s_wait_dscnt 0x0
	v_add_f32_e32 v11, v11, v12
	ds_bpermute_b32 v12, v4, v11
	s_wait_dscnt 0x0
	v_add_f32_e32 v11, v11, v12
	ds_bpermute_b32 v12, v5, v11
	s_wait_dscnt 0x0
	v_add_f32_e32 v11, v11, v12
	ds_bpermute_b32 v12, v6, v11
	s_wait_dscnt 0x0
	v_add_f32_e32 v11, v11, v12
	ds_bpermute_b32 v12, v7, v11
	s_and_saveexec_b32 s5, s48
	s_cbranch_execz .LBB4_77
; %bb.76:
	s_wait_dscnt 0x0
	v_dual_mov_b32 v13, 0 :: v_dual_add_f32 v11, v11, v12
	ds_load_b32 v13, v13 offset:3120
	s_wait_loadcnt 0x0
	v_sub_f32_e32 v8, v8, v11
	s_wait_dscnt 0x0
	s_delay_alu instid0(VALU_DEP_1) | instskip(NEXT) | instid1(VALU_DEP_1)
	v_div_scale_f32 v11, null, v13, v13, v8
	v_rcp_f32_e32 v12, v11
	v_nop
	s_delay_alu instid0(TRANS32_DEP_1) | instskip(NEXT) | instid1(VALU_DEP_1)
	v_fma_f32 v14, -v11, v12, 1.0
	v_fmac_f32_e32 v12, v14, v12
	v_div_scale_f32 v14, vcc_lo, v8, v13, v8
	s_delay_alu instid0(VALU_DEP_1) | instskip(NEXT) | instid1(VALU_DEP_1)
	v_mul_f32_e32 v15, v14, v12
	v_fma_f32 v16, -v11, v15, v14
	s_delay_alu instid0(VALU_DEP_1) | instskip(NEXT) | instid1(VALU_DEP_1)
	v_fmac_f32_e32 v15, v16, v12
	v_fma_f32 v11, -v11, v15, v14
	s_delay_alu instid0(VALU_DEP_1) | instskip(NEXT) | instid1(VALU_DEP_1)
	v_div_fmas_f32 v11, v11, v12, v15
	v_div_fixup_f32 v8, v11, v13, v8
.LBB4_77:
	s_or_b32 exec_lo, exec_lo, s5
	v_cmp_gt_u32_e64 s17, 13, v10
	v_mov_b32_e32 v11, 0
	s_and_saveexec_b32 s5, s17
	s_cbranch_execz .LBB4_79
; %bb.78:
	ds_load_b32 v11, v2 offset:3328
	s_wait_loadcnt_dscnt 0x0
	v_fma_f32 v11, v8, v11, 0
.LBB4_79:
	s_or_b32 exec_lo, exec_lo, s5
	s_wait_dscnt 0x0
	ds_bpermute_b32 v12, v3, v11
	v_cmp_eq_u32_e64 s49, 13, v10
	s_wait_dscnt 0x0
	v_add_f32_e32 v11, v11, v12
	ds_bpermute_b32 v12, v4, v11
	s_wait_dscnt 0x0
	v_add_f32_e32 v11, v11, v12
	ds_bpermute_b32 v12, v5, v11
	s_wait_dscnt 0x0
	v_add_f32_e32 v11, v11, v12
	ds_bpermute_b32 v12, v6, v11
	s_wait_dscnt 0x0
	v_add_f32_e32 v11, v11, v12
	ds_bpermute_b32 v12, v7, v11
	s_and_saveexec_b32 s5, s49
	s_cbranch_execz .LBB4_81
; %bb.80:
	s_wait_dscnt 0x0
	v_dual_mov_b32 v13, 0 :: v_dual_add_f32 v11, v11, v12
	ds_load_b32 v13, v13 offset:3380
	s_wait_loadcnt 0x0
	v_sub_f32_e32 v8, v8, v11
	s_wait_dscnt 0x0
	s_delay_alu instid0(VALU_DEP_1) | instskip(NEXT) | instid1(VALU_DEP_1)
	v_div_scale_f32 v11, null, v13, v13, v8
	v_rcp_f32_e32 v12, v11
	v_nop
	s_delay_alu instid0(TRANS32_DEP_1) | instskip(NEXT) | instid1(VALU_DEP_1)
	v_fma_f32 v14, -v11, v12, 1.0
	v_fmac_f32_e32 v12, v14, v12
	v_div_scale_f32 v14, vcc_lo, v8, v13, v8
	s_delay_alu instid0(VALU_DEP_1) | instskip(NEXT) | instid1(VALU_DEP_1)
	v_mul_f32_e32 v15, v14, v12
	v_fma_f32 v16, -v11, v15, v14
	s_delay_alu instid0(VALU_DEP_1) | instskip(NEXT) | instid1(VALU_DEP_1)
	v_fmac_f32_e32 v15, v16, v12
	v_fma_f32 v11, -v11, v15, v14
	s_delay_alu instid0(VALU_DEP_1) | instskip(NEXT) | instid1(VALU_DEP_1)
	v_div_fmas_f32 v11, v11, v12, v15
	v_div_fixup_f32 v8, v11, v13, v8
.LBB4_81:
	s_or_b32 exec_lo, exec_lo, s5
	v_cmp_gt_u32_e64 s18, 14, v10
	v_mov_b32_e32 v11, 0
	s_and_saveexec_b32 s5, s18
	s_cbranch_execz .LBB4_83
; %bb.82:
	ds_load_b32 v11, v2 offset:3584
	s_wait_loadcnt_dscnt 0x0
	v_fma_f32 v11, v8, v11, 0
.LBB4_83:
	s_or_b32 exec_lo, exec_lo, s5
	s_wait_dscnt 0x0
	ds_bpermute_b32 v12, v3, v11
	v_cmp_eq_u32_e64 s50, 14, v10
	s_wait_dscnt 0x0
	v_add_f32_e32 v11, v11, v12
	ds_bpermute_b32 v12, v4, v11
	s_wait_dscnt 0x0
	v_add_f32_e32 v11, v11, v12
	ds_bpermute_b32 v12, v5, v11
	s_wait_dscnt 0x0
	v_add_f32_e32 v11, v11, v12
	ds_bpermute_b32 v12, v6, v11
	s_wait_dscnt 0x0
	v_add_f32_e32 v11, v11, v12
	ds_bpermute_b32 v12, v7, v11
	s_and_saveexec_b32 s5, s50
	s_cbranch_execz .LBB4_85
; %bb.84:
	s_wait_dscnt 0x0
	v_dual_mov_b32 v13, 0 :: v_dual_add_f32 v11, v11, v12
	ds_load_b32 v13, v13 offset:3640
	s_wait_loadcnt 0x0
	v_sub_f32_e32 v8, v8, v11
	s_wait_dscnt 0x0
	s_delay_alu instid0(VALU_DEP_1) | instskip(NEXT) | instid1(VALU_DEP_1)
	v_div_scale_f32 v11, null, v13, v13, v8
	v_rcp_f32_e32 v12, v11
	v_nop
	s_delay_alu instid0(TRANS32_DEP_1) | instskip(NEXT) | instid1(VALU_DEP_1)
	v_fma_f32 v14, -v11, v12, 1.0
	v_fmac_f32_e32 v12, v14, v12
	v_div_scale_f32 v14, vcc_lo, v8, v13, v8
	s_delay_alu instid0(VALU_DEP_1) | instskip(NEXT) | instid1(VALU_DEP_1)
	v_mul_f32_e32 v15, v14, v12
	v_fma_f32 v16, -v11, v15, v14
	s_delay_alu instid0(VALU_DEP_1) | instskip(NEXT) | instid1(VALU_DEP_1)
	v_fmac_f32_e32 v15, v16, v12
	v_fma_f32 v11, -v11, v15, v14
	s_delay_alu instid0(VALU_DEP_1) | instskip(NEXT) | instid1(VALU_DEP_1)
	v_div_fmas_f32 v11, v11, v12, v15
	v_div_fixup_f32 v8, v11, v13, v8
.LBB4_85:
	s_or_b32 exec_lo, exec_lo, s5
	v_cmp_gt_u32_e64 s19, 15, v10
	v_mov_b32_e32 v11, 0
	s_and_saveexec_b32 s5, s19
	s_cbranch_execz .LBB4_87
; %bb.86:
	ds_load_b32 v11, v2 offset:3840
	s_wait_loadcnt_dscnt 0x0
	v_fma_f32 v11, v8, v11, 0
.LBB4_87:
	s_or_b32 exec_lo, exec_lo, s5
	s_wait_dscnt 0x0
	ds_bpermute_b32 v12, v3, v11
	v_cmp_eq_u32_e64 s51, 15, v10
	s_wait_dscnt 0x0
	v_add_f32_e32 v11, v11, v12
	ds_bpermute_b32 v12, v4, v11
	s_wait_dscnt 0x0
	v_add_f32_e32 v11, v11, v12
	ds_bpermute_b32 v12, v5, v11
	s_wait_dscnt 0x0
	v_add_f32_e32 v11, v11, v12
	ds_bpermute_b32 v12, v6, v11
	s_wait_dscnt 0x0
	v_add_f32_e32 v11, v11, v12
	ds_bpermute_b32 v12, v7, v11
	s_and_saveexec_b32 s5, s51
	s_cbranch_execz .LBB4_89
; %bb.88:
	s_wait_dscnt 0x0
	v_dual_mov_b32 v13, 0 :: v_dual_add_f32 v11, v11, v12
	ds_load_b32 v13, v13 offset:3900
	s_wait_loadcnt 0x0
	v_sub_f32_e32 v8, v8, v11
	s_wait_dscnt 0x0
	s_delay_alu instid0(VALU_DEP_1) | instskip(NEXT) | instid1(VALU_DEP_1)
	v_div_scale_f32 v11, null, v13, v13, v8
	v_rcp_f32_e32 v12, v11
	v_nop
	s_delay_alu instid0(TRANS32_DEP_1) | instskip(NEXT) | instid1(VALU_DEP_1)
	v_fma_f32 v14, -v11, v12, 1.0
	v_fmac_f32_e32 v12, v14, v12
	v_div_scale_f32 v14, vcc_lo, v8, v13, v8
	s_delay_alu instid0(VALU_DEP_1) | instskip(NEXT) | instid1(VALU_DEP_1)
	v_mul_f32_e32 v15, v14, v12
	v_fma_f32 v16, -v11, v15, v14
	s_delay_alu instid0(VALU_DEP_1) | instskip(NEXT) | instid1(VALU_DEP_1)
	v_fmac_f32_e32 v15, v16, v12
	v_fma_f32 v11, -v11, v15, v14
	s_delay_alu instid0(VALU_DEP_1) | instskip(NEXT) | instid1(VALU_DEP_1)
	v_div_fmas_f32 v11, v11, v12, v15
	v_div_fixup_f32 v8, v11, v13, v8
.LBB4_89:
	s_or_b32 exec_lo, exec_lo, s5
	v_cmp_gt_u32_e64 s20, 16, v10
	v_mov_b32_e32 v11, 0
	s_and_saveexec_b32 s5, s20
	s_cbranch_execz .LBB4_91
; %bb.90:
	ds_load_b32 v11, v2 offset:4096
	s_wait_loadcnt_dscnt 0x0
	v_fma_f32 v11, v8, v11, 0
.LBB4_91:
	s_or_b32 exec_lo, exec_lo, s5
	s_wait_dscnt 0x0
	ds_bpermute_b32 v12, v3, v11
	v_cmp_eq_u32_e64 s52, 16, v10
	s_wait_dscnt 0x0
	v_add_f32_e32 v11, v11, v12
	ds_bpermute_b32 v12, v4, v11
	s_wait_dscnt 0x0
	v_add_f32_e32 v11, v11, v12
	ds_bpermute_b32 v12, v5, v11
	s_wait_dscnt 0x0
	v_add_f32_e32 v11, v11, v12
	ds_bpermute_b32 v12, v6, v11
	s_wait_dscnt 0x0
	v_add_f32_e32 v11, v11, v12
	ds_bpermute_b32 v12, v7, v11
	s_and_saveexec_b32 s5, s52
	s_cbranch_execz .LBB4_93
; %bb.92:
	s_wait_dscnt 0x0
	v_dual_mov_b32 v13, 0 :: v_dual_add_f32 v11, v11, v12
	ds_load_b32 v13, v13 offset:4160
	s_wait_loadcnt 0x0
	v_sub_f32_e32 v8, v8, v11
	s_wait_dscnt 0x0
	s_delay_alu instid0(VALU_DEP_1) | instskip(NEXT) | instid1(VALU_DEP_1)
	v_div_scale_f32 v11, null, v13, v13, v8
	v_rcp_f32_e32 v12, v11
	v_nop
	s_delay_alu instid0(TRANS32_DEP_1) | instskip(NEXT) | instid1(VALU_DEP_1)
	v_fma_f32 v14, -v11, v12, 1.0
	v_fmac_f32_e32 v12, v14, v12
	v_div_scale_f32 v14, vcc_lo, v8, v13, v8
	s_delay_alu instid0(VALU_DEP_1) | instskip(NEXT) | instid1(VALU_DEP_1)
	v_mul_f32_e32 v15, v14, v12
	v_fma_f32 v16, -v11, v15, v14
	s_delay_alu instid0(VALU_DEP_1) | instskip(NEXT) | instid1(VALU_DEP_1)
	v_fmac_f32_e32 v15, v16, v12
	v_fma_f32 v11, -v11, v15, v14
	s_delay_alu instid0(VALU_DEP_1) | instskip(NEXT) | instid1(VALU_DEP_1)
	v_div_fmas_f32 v11, v11, v12, v15
	v_div_fixup_f32 v8, v11, v13, v8
.LBB4_93:
	s_or_b32 exec_lo, exec_lo, s5
	v_cmp_gt_u32_e64 s21, 17, v10
	v_mov_b32_e32 v11, 0
	s_and_saveexec_b32 s5, s21
	s_cbranch_execz .LBB4_95
; %bb.94:
	ds_load_b32 v11, v2 offset:4352
	s_wait_loadcnt_dscnt 0x0
	v_fma_f32 v11, v8, v11, 0
.LBB4_95:
	s_or_b32 exec_lo, exec_lo, s5
	s_wait_dscnt 0x0
	ds_bpermute_b32 v12, v3, v11
	v_cmp_eq_u32_e64 s53, 17, v10
	s_wait_dscnt 0x0
	v_add_f32_e32 v11, v11, v12
	ds_bpermute_b32 v12, v4, v11
	s_wait_dscnt 0x0
	v_add_f32_e32 v11, v11, v12
	ds_bpermute_b32 v12, v5, v11
	s_wait_dscnt 0x0
	v_add_f32_e32 v11, v11, v12
	ds_bpermute_b32 v12, v6, v11
	s_wait_dscnt 0x0
	v_add_f32_e32 v11, v11, v12
	ds_bpermute_b32 v12, v7, v11
	s_and_saveexec_b32 s5, s53
	s_cbranch_execz .LBB4_97
; %bb.96:
	s_wait_dscnt 0x0
	v_dual_mov_b32 v13, 0 :: v_dual_add_f32 v11, v11, v12
	ds_load_b32 v13, v13 offset:4420
	s_wait_loadcnt 0x0
	v_sub_f32_e32 v8, v8, v11
	s_wait_dscnt 0x0
	s_delay_alu instid0(VALU_DEP_1) | instskip(NEXT) | instid1(VALU_DEP_1)
	v_div_scale_f32 v11, null, v13, v13, v8
	v_rcp_f32_e32 v12, v11
	v_nop
	s_delay_alu instid0(TRANS32_DEP_1) | instskip(NEXT) | instid1(VALU_DEP_1)
	v_fma_f32 v14, -v11, v12, 1.0
	v_fmac_f32_e32 v12, v14, v12
	v_div_scale_f32 v14, vcc_lo, v8, v13, v8
	s_delay_alu instid0(VALU_DEP_1) | instskip(NEXT) | instid1(VALU_DEP_1)
	v_mul_f32_e32 v15, v14, v12
	v_fma_f32 v16, -v11, v15, v14
	s_delay_alu instid0(VALU_DEP_1) | instskip(NEXT) | instid1(VALU_DEP_1)
	v_fmac_f32_e32 v15, v16, v12
	v_fma_f32 v11, -v11, v15, v14
	s_delay_alu instid0(VALU_DEP_1) | instskip(NEXT) | instid1(VALU_DEP_1)
	v_div_fmas_f32 v11, v11, v12, v15
	v_div_fixup_f32 v8, v11, v13, v8
.LBB4_97:
	s_or_b32 exec_lo, exec_lo, s5
	v_cmp_gt_u32_e64 s22, 18, v10
	v_mov_b32_e32 v11, 0
	s_and_saveexec_b32 s5, s22
	s_cbranch_execz .LBB4_99
; %bb.98:
	ds_load_b32 v11, v2 offset:4608
	s_wait_loadcnt_dscnt 0x0
	v_fma_f32 v11, v8, v11, 0
.LBB4_99:
	s_or_b32 exec_lo, exec_lo, s5
	s_wait_dscnt 0x0
	ds_bpermute_b32 v12, v3, v11
	v_cmp_eq_u32_e64 s54, 18, v10
	s_wait_dscnt 0x0
	v_add_f32_e32 v11, v11, v12
	ds_bpermute_b32 v12, v4, v11
	s_wait_dscnt 0x0
	v_add_f32_e32 v11, v11, v12
	ds_bpermute_b32 v12, v5, v11
	s_wait_dscnt 0x0
	v_add_f32_e32 v11, v11, v12
	ds_bpermute_b32 v12, v6, v11
	s_wait_dscnt 0x0
	v_add_f32_e32 v11, v11, v12
	ds_bpermute_b32 v12, v7, v11
	s_and_saveexec_b32 s5, s54
	s_cbranch_execz .LBB4_101
; %bb.100:
	s_wait_dscnt 0x0
	v_dual_mov_b32 v13, 0 :: v_dual_add_f32 v11, v11, v12
	ds_load_b32 v13, v13 offset:4680
	s_wait_loadcnt 0x0
	v_sub_f32_e32 v8, v8, v11
	s_wait_dscnt 0x0
	s_delay_alu instid0(VALU_DEP_1) | instskip(NEXT) | instid1(VALU_DEP_1)
	v_div_scale_f32 v11, null, v13, v13, v8
	v_rcp_f32_e32 v12, v11
	v_nop
	s_delay_alu instid0(TRANS32_DEP_1) | instskip(NEXT) | instid1(VALU_DEP_1)
	v_fma_f32 v14, -v11, v12, 1.0
	v_fmac_f32_e32 v12, v14, v12
	v_div_scale_f32 v14, vcc_lo, v8, v13, v8
	s_delay_alu instid0(VALU_DEP_1) | instskip(NEXT) | instid1(VALU_DEP_1)
	v_mul_f32_e32 v15, v14, v12
	v_fma_f32 v16, -v11, v15, v14
	s_delay_alu instid0(VALU_DEP_1) | instskip(NEXT) | instid1(VALU_DEP_1)
	v_fmac_f32_e32 v15, v16, v12
	v_fma_f32 v11, -v11, v15, v14
	s_delay_alu instid0(VALU_DEP_1) | instskip(NEXT) | instid1(VALU_DEP_1)
	v_div_fmas_f32 v11, v11, v12, v15
	v_div_fixup_f32 v8, v11, v13, v8
.LBB4_101:
	s_or_b32 exec_lo, exec_lo, s5
	v_cmp_gt_u32_e64 s23, 19, v10
	v_mov_b32_e32 v11, 0
	s_and_saveexec_b32 s5, s23
	s_cbranch_execz .LBB4_103
; %bb.102:
	ds_load_b32 v11, v2 offset:4864
	s_wait_loadcnt_dscnt 0x0
	v_fma_f32 v11, v8, v11, 0
.LBB4_103:
	s_or_b32 exec_lo, exec_lo, s5
	s_wait_dscnt 0x0
	ds_bpermute_b32 v12, v3, v11
	v_cmp_eq_u32_e64 s55, 19, v10
	s_wait_dscnt 0x0
	v_add_f32_e32 v11, v11, v12
	ds_bpermute_b32 v12, v4, v11
	s_wait_dscnt 0x0
	v_add_f32_e32 v11, v11, v12
	ds_bpermute_b32 v12, v5, v11
	s_wait_dscnt 0x0
	v_add_f32_e32 v11, v11, v12
	ds_bpermute_b32 v12, v6, v11
	s_wait_dscnt 0x0
	v_add_f32_e32 v11, v11, v12
	ds_bpermute_b32 v12, v7, v11
	s_and_saveexec_b32 s5, s55
	s_cbranch_execz .LBB4_105
; %bb.104:
	s_wait_dscnt 0x0
	v_dual_mov_b32 v13, 0 :: v_dual_add_f32 v11, v11, v12
	ds_load_b32 v13, v13 offset:4940
	s_wait_loadcnt 0x0
	v_sub_f32_e32 v8, v8, v11
	s_wait_dscnt 0x0
	s_delay_alu instid0(VALU_DEP_1) | instskip(NEXT) | instid1(VALU_DEP_1)
	v_div_scale_f32 v11, null, v13, v13, v8
	v_rcp_f32_e32 v12, v11
	v_nop
	s_delay_alu instid0(TRANS32_DEP_1) | instskip(NEXT) | instid1(VALU_DEP_1)
	v_fma_f32 v14, -v11, v12, 1.0
	v_fmac_f32_e32 v12, v14, v12
	v_div_scale_f32 v14, vcc_lo, v8, v13, v8
	s_delay_alu instid0(VALU_DEP_1) | instskip(NEXT) | instid1(VALU_DEP_1)
	v_mul_f32_e32 v15, v14, v12
	v_fma_f32 v16, -v11, v15, v14
	s_delay_alu instid0(VALU_DEP_1) | instskip(NEXT) | instid1(VALU_DEP_1)
	v_fmac_f32_e32 v15, v16, v12
	v_fma_f32 v11, -v11, v15, v14
	s_delay_alu instid0(VALU_DEP_1) | instskip(NEXT) | instid1(VALU_DEP_1)
	v_div_fmas_f32 v11, v11, v12, v15
	v_div_fixup_f32 v8, v11, v13, v8
.LBB4_105:
	s_or_b32 exec_lo, exec_lo, s5
	v_cmp_gt_u32_e64 s24, 20, v10
	v_mov_b32_e32 v11, 0
	s_and_saveexec_b32 s5, s24
	s_cbranch_execz .LBB4_107
; %bb.106:
	ds_load_b32 v11, v2 offset:5120
	s_wait_loadcnt_dscnt 0x0
	v_fma_f32 v11, v8, v11, 0
.LBB4_107:
	s_or_b32 exec_lo, exec_lo, s5
	s_wait_dscnt 0x0
	ds_bpermute_b32 v12, v3, v11
	v_cmp_eq_u32_e64 s56, 20, v10
	s_wait_dscnt 0x0
	v_add_f32_e32 v11, v11, v12
	ds_bpermute_b32 v12, v4, v11
	s_wait_dscnt 0x0
	v_add_f32_e32 v11, v11, v12
	ds_bpermute_b32 v12, v5, v11
	s_wait_dscnt 0x0
	v_add_f32_e32 v11, v11, v12
	ds_bpermute_b32 v12, v6, v11
	s_wait_dscnt 0x0
	v_add_f32_e32 v11, v11, v12
	ds_bpermute_b32 v12, v7, v11
	s_and_saveexec_b32 s5, s56
	s_cbranch_execz .LBB4_109
; %bb.108:
	s_wait_dscnt 0x0
	v_dual_mov_b32 v13, 0 :: v_dual_add_f32 v11, v11, v12
	ds_load_b32 v13, v13 offset:5200
	s_wait_loadcnt 0x0
	v_sub_f32_e32 v8, v8, v11
	s_wait_dscnt 0x0
	s_delay_alu instid0(VALU_DEP_1) | instskip(NEXT) | instid1(VALU_DEP_1)
	v_div_scale_f32 v11, null, v13, v13, v8
	v_rcp_f32_e32 v12, v11
	v_nop
	s_delay_alu instid0(TRANS32_DEP_1) | instskip(NEXT) | instid1(VALU_DEP_1)
	v_fma_f32 v14, -v11, v12, 1.0
	v_fmac_f32_e32 v12, v14, v12
	v_div_scale_f32 v14, vcc_lo, v8, v13, v8
	s_delay_alu instid0(VALU_DEP_1) | instskip(NEXT) | instid1(VALU_DEP_1)
	v_mul_f32_e32 v15, v14, v12
	v_fma_f32 v16, -v11, v15, v14
	s_delay_alu instid0(VALU_DEP_1) | instskip(NEXT) | instid1(VALU_DEP_1)
	v_fmac_f32_e32 v15, v16, v12
	v_fma_f32 v11, -v11, v15, v14
	s_delay_alu instid0(VALU_DEP_1) | instskip(NEXT) | instid1(VALU_DEP_1)
	v_div_fmas_f32 v11, v11, v12, v15
	v_div_fixup_f32 v8, v11, v13, v8
.LBB4_109:
	s_or_b32 exec_lo, exec_lo, s5
	v_cmp_gt_u32_e64 s25, 21, v10
	v_mov_b32_e32 v11, 0
	s_and_saveexec_b32 s5, s25
	s_cbranch_execz .LBB4_111
; %bb.110:
	ds_load_b32 v11, v2 offset:5376
	s_wait_loadcnt_dscnt 0x0
	v_fma_f32 v11, v8, v11, 0
.LBB4_111:
	s_or_b32 exec_lo, exec_lo, s5
	s_wait_dscnt 0x0
	ds_bpermute_b32 v12, v3, v11
	v_cmp_eq_u32_e64 s57, 21, v10
	s_wait_dscnt 0x0
	v_add_f32_e32 v11, v11, v12
	ds_bpermute_b32 v12, v4, v11
	s_wait_dscnt 0x0
	v_add_f32_e32 v11, v11, v12
	ds_bpermute_b32 v12, v5, v11
	s_wait_dscnt 0x0
	v_add_f32_e32 v11, v11, v12
	ds_bpermute_b32 v12, v6, v11
	s_wait_dscnt 0x0
	v_add_f32_e32 v11, v11, v12
	ds_bpermute_b32 v12, v7, v11
	s_and_saveexec_b32 s5, s57
	s_cbranch_execz .LBB4_113
; %bb.112:
	s_wait_dscnt 0x0
	v_dual_mov_b32 v13, 0 :: v_dual_add_f32 v11, v11, v12
	ds_load_b32 v13, v13 offset:5460
	s_wait_loadcnt 0x0
	v_sub_f32_e32 v8, v8, v11
	s_wait_dscnt 0x0
	s_delay_alu instid0(VALU_DEP_1) | instskip(NEXT) | instid1(VALU_DEP_1)
	v_div_scale_f32 v11, null, v13, v13, v8
	v_rcp_f32_e32 v12, v11
	v_nop
	s_delay_alu instid0(TRANS32_DEP_1) | instskip(NEXT) | instid1(VALU_DEP_1)
	v_fma_f32 v14, -v11, v12, 1.0
	v_fmac_f32_e32 v12, v14, v12
	v_div_scale_f32 v14, vcc_lo, v8, v13, v8
	s_delay_alu instid0(VALU_DEP_1) | instskip(NEXT) | instid1(VALU_DEP_1)
	v_mul_f32_e32 v15, v14, v12
	v_fma_f32 v16, -v11, v15, v14
	s_delay_alu instid0(VALU_DEP_1) | instskip(NEXT) | instid1(VALU_DEP_1)
	v_fmac_f32_e32 v15, v16, v12
	v_fma_f32 v11, -v11, v15, v14
	s_delay_alu instid0(VALU_DEP_1) | instskip(NEXT) | instid1(VALU_DEP_1)
	v_div_fmas_f32 v11, v11, v12, v15
	v_div_fixup_f32 v8, v11, v13, v8
.LBB4_113:
	s_or_b32 exec_lo, exec_lo, s5
	v_cmp_gt_u32_e64 s26, 22, v10
	v_mov_b32_e32 v11, 0
	s_and_saveexec_b32 s5, s26
	s_cbranch_execz .LBB4_115
; %bb.114:
	ds_load_b32 v11, v2 offset:5632
	s_wait_loadcnt_dscnt 0x0
	v_fma_f32 v11, v8, v11, 0
.LBB4_115:
	s_or_b32 exec_lo, exec_lo, s5
	s_wait_dscnt 0x0
	ds_bpermute_b32 v12, v3, v11
	v_cmp_eq_u32_e64 s58, 22, v10
	s_wait_dscnt 0x0
	v_add_f32_e32 v11, v11, v12
	ds_bpermute_b32 v12, v4, v11
	s_wait_dscnt 0x0
	v_add_f32_e32 v11, v11, v12
	ds_bpermute_b32 v12, v5, v11
	s_wait_dscnt 0x0
	v_add_f32_e32 v11, v11, v12
	ds_bpermute_b32 v12, v6, v11
	s_wait_dscnt 0x0
	v_add_f32_e32 v11, v11, v12
	ds_bpermute_b32 v12, v7, v11
	s_and_saveexec_b32 s5, s58
	s_cbranch_execz .LBB4_117
; %bb.116:
	s_wait_dscnt 0x0
	v_dual_mov_b32 v13, 0 :: v_dual_add_f32 v11, v11, v12
	ds_load_b32 v13, v13 offset:5720
	s_wait_loadcnt 0x0
	v_sub_f32_e32 v8, v8, v11
	s_wait_dscnt 0x0
	s_delay_alu instid0(VALU_DEP_1) | instskip(NEXT) | instid1(VALU_DEP_1)
	v_div_scale_f32 v11, null, v13, v13, v8
	v_rcp_f32_e32 v12, v11
	v_nop
	s_delay_alu instid0(TRANS32_DEP_1) | instskip(NEXT) | instid1(VALU_DEP_1)
	v_fma_f32 v14, -v11, v12, 1.0
	v_fmac_f32_e32 v12, v14, v12
	v_div_scale_f32 v14, vcc_lo, v8, v13, v8
	s_delay_alu instid0(VALU_DEP_1) | instskip(NEXT) | instid1(VALU_DEP_1)
	v_mul_f32_e32 v15, v14, v12
	v_fma_f32 v16, -v11, v15, v14
	s_delay_alu instid0(VALU_DEP_1) | instskip(NEXT) | instid1(VALU_DEP_1)
	v_fmac_f32_e32 v15, v16, v12
	v_fma_f32 v11, -v11, v15, v14
	s_delay_alu instid0(VALU_DEP_1) | instskip(NEXT) | instid1(VALU_DEP_1)
	v_div_fmas_f32 v11, v11, v12, v15
	v_div_fixup_f32 v8, v11, v13, v8
.LBB4_117:
	s_or_b32 exec_lo, exec_lo, s5
	v_cmp_gt_u32_e64 s27, 23, v10
	v_mov_b32_e32 v11, 0
	s_and_saveexec_b32 s5, s27
	s_cbranch_execz .LBB4_119
; %bb.118:
	ds_load_b32 v11, v2 offset:5888
	s_wait_loadcnt_dscnt 0x0
	v_fma_f32 v11, v8, v11, 0
.LBB4_119:
	s_or_b32 exec_lo, exec_lo, s5
	s_wait_dscnt 0x0
	ds_bpermute_b32 v12, v3, v11
	v_cmp_eq_u32_e64 s59, 23, v10
	s_wait_dscnt 0x0
	v_add_f32_e32 v11, v11, v12
	ds_bpermute_b32 v12, v4, v11
	s_wait_dscnt 0x0
	v_add_f32_e32 v11, v11, v12
	ds_bpermute_b32 v12, v5, v11
	s_wait_dscnt 0x0
	v_add_f32_e32 v11, v11, v12
	ds_bpermute_b32 v12, v6, v11
	s_wait_dscnt 0x0
	v_add_f32_e32 v11, v11, v12
	ds_bpermute_b32 v12, v7, v11
	s_and_saveexec_b32 s5, s59
	s_cbranch_execz .LBB4_121
; %bb.120:
	s_wait_dscnt 0x0
	v_dual_mov_b32 v13, 0 :: v_dual_add_f32 v11, v11, v12
	ds_load_b32 v13, v13 offset:5980
	s_wait_loadcnt 0x0
	v_sub_f32_e32 v8, v8, v11
	s_wait_dscnt 0x0
	s_delay_alu instid0(VALU_DEP_1) | instskip(NEXT) | instid1(VALU_DEP_1)
	v_div_scale_f32 v11, null, v13, v13, v8
	v_rcp_f32_e32 v12, v11
	v_nop
	s_delay_alu instid0(TRANS32_DEP_1) | instskip(NEXT) | instid1(VALU_DEP_1)
	v_fma_f32 v14, -v11, v12, 1.0
	v_fmac_f32_e32 v12, v14, v12
	v_div_scale_f32 v14, vcc_lo, v8, v13, v8
	s_delay_alu instid0(VALU_DEP_1) | instskip(NEXT) | instid1(VALU_DEP_1)
	v_mul_f32_e32 v15, v14, v12
	v_fma_f32 v16, -v11, v15, v14
	s_delay_alu instid0(VALU_DEP_1) | instskip(NEXT) | instid1(VALU_DEP_1)
	v_fmac_f32_e32 v15, v16, v12
	v_fma_f32 v11, -v11, v15, v14
	s_delay_alu instid0(VALU_DEP_1) | instskip(NEXT) | instid1(VALU_DEP_1)
	v_div_fmas_f32 v11, v11, v12, v15
	v_div_fixup_f32 v8, v11, v13, v8
.LBB4_121:
	s_or_b32 exec_lo, exec_lo, s5
	v_cmp_gt_u32_e64 s28, 24, v10
	v_mov_b32_e32 v11, 0
	s_and_saveexec_b32 s5, s28
	s_cbranch_execz .LBB4_123
; %bb.122:
	ds_load_b32 v11, v2 offset:6144
	s_wait_loadcnt_dscnt 0x0
	v_fma_f32 v11, v8, v11, 0
.LBB4_123:
	s_or_b32 exec_lo, exec_lo, s5
	s_wait_dscnt 0x0
	ds_bpermute_b32 v12, v3, v11
	v_cmp_eq_u32_e64 s60, 24, v10
	s_wait_dscnt 0x0
	v_add_f32_e32 v11, v11, v12
	ds_bpermute_b32 v12, v4, v11
	s_wait_dscnt 0x0
	v_add_f32_e32 v11, v11, v12
	ds_bpermute_b32 v12, v5, v11
	s_wait_dscnt 0x0
	v_add_f32_e32 v11, v11, v12
	ds_bpermute_b32 v12, v6, v11
	s_wait_dscnt 0x0
	v_add_f32_e32 v11, v11, v12
	ds_bpermute_b32 v12, v7, v11
	s_and_saveexec_b32 s5, s60
	s_cbranch_execz .LBB4_125
; %bb.124:
	s_wait_dscnt 0x0
	v_dual_mov_b32 v13, 0 :: v_dual_add_f32 v11, v11, v12
	ds_load_b32 v13, v13 offset:6240
	s_wait_loadcnt 0x0
	v_sub_f32_e32 v8, v8, v11
	s_wait_dscnt 0x0
	s_delay_alu instid0(VALU_DEP_1) | instskip(NEXT) | instid1(VALU_DEP_1)
	v_div_scale_f32 v11, null, v13, v13, v8
	v_rcp_f32_e32 v12, v11
	v_nop
	s_delay_alu instid0(TRANS32_DEP_1) | instskip(NEXT) | instid1(VALU_DEP_1)
	v_fma_f32 v14, -v11, v12, 1.0
	v_fmac_f32_e32 v12, v14, v12
	v_div_scale_f32 v14, vcc_lo, v8, v13, v8
	s_delay_alu instid0(VALU_DEP_1) | instskip(NEXT) | instid1(VALU_DEP_1)
	v_mul_f32_e32 v15, v14, v12
	v_fma_f32 v16, -v11, v15, v14
	s_delay_alu instid0(VALU_DEP_1) | instskip(NEXT) | instid1(VALU_DEP_1)
	v_fmac_f32_e32 v15, v16, v12
	v_fma_f32 v11, -v11, v15, v14
	s_delay_alu instid0(VALU_DEP_1) | instskip(NEXT) | instid1(VALU_DEP_1)
	v_div_fmas_f32 v11, v11, v12, v15
	v_div_fixup_f32 v8, v11, v13, v8
.LBB4_125:
	s_or_b32 exec_lo, exec_lo, s5
	v_cmp_gt_u32_e64 s29, 25, v10
	v_mov_b32_e32 v11, 0
	s_and_saveexec_b32 s5, s29
	s_cbranch_execz .LBB4_127
; %bb.126:
	ds_load_b32 v11, v2 offset:6400
	s_wait_loadcnt_dscnt 0x0
	v_fma_f32 v11, v8, v11, 0
.LBB4_127:
	s_or_b32 exec_lo, exec_lo, s5
	s_wait_dscnt 0x0
	ds_bpermute_b32 v12, v3, v11
	v_cmp_eq_u32_e64 s61, 25, v10
	s_wait_dscnt 0x0
	v_add_f32_e32 v11, v11, v12
	ds_bpermute_b32 v12, v4, v11
	s_wait_dscnt 0x0
	v_add_f32_e32 v11, v11, v12
	ds_bpermute_b32 v12, v5, v11
	s_wait_dscnt 0x0
	v_add_f32_e32 v11, v11, v12
	ds_bpermute_b32 v12, v6, v11
	s_wait_dscnt 0x0
	v_add_f32_e32 v11, v11, v12
	ds_bpermute_b32 v12, v7, v11
	s_and_saveexec_b32 s5, s61
	s_cbranch_execz .LBB4_129
; %bb.128:
	s_wait_dscnt 0x0
	v_dual_mov_b32 v13, 0 :: v_dual_add_f32 v11, v11, v12
	ds_load_b32 v13, v13 offset:6500
	s_wait_loadcnt 0x0
	v_sub_f32_e32 v8, v8, v11
	s_wait_dscnt 0x0
	s_delay_alu instid0(VALU_DEP_1) | instskip(NEXT) | instid1(VALU_DEP_1)
	v_div_scale_f32 v11, null, v13, v13, v8
	v_rcp_f32_e32 v12, v11
	v_nop
	s_delay_alu instid0(TRANS32_DEP_1) | instskip(NEXT) | instid1(VALU_DEP_1)
	v_fma_f32 v14, -v11, v12, 1.0
	v_fmac_f32_e32 v12, v14, v12
	v_div_scale_f32 v14, vcc_lo, v8, v13, v8
	s_delay_alu instid0(VALU_DEP_1) | instskip(NEXT) | instid1(VALU_DEP_1)
	v_mul_f32_e32 v15, v14, v12
	v_fma_f32 v16, -v11, v15, v14
	s_delay_alu instid0(VALU_DEP_1) | instskip(NEXT) | instid1(VALU_DEP_1)
	v_fmac_f32_e32 v15, v16, v12
	v_fma_f32 v11, -v11, v15, v14
	s_delay_alu instid0(VALU_DEP_1) | instskip(NEXT) | instid1(VALU_DEP_1)
	v_div_fmas_f32 v11, v11, v12, v15
	v_div_fixup_f32 v8, v11, v13, v8
.LBB4_129:
	s_or_b32 exec_lo, exec_lo, s5
	v_cmp_gt_u32_e64 s30, 26, v10
	v_mov_b32_e32 v11, 0
	s_and_saveexec_b32 s5, s30
	s_cbranch_execz .LBB4_131
; %bb.130:
	ds_load_b32 v11, v2 offset:6656
	s_wait_loadcnt_dscnt 0x0
	v_fma_f32 v11, v8, v11, 0
.LBB4_131:
	s_or_b32 exec_lo, exec_lo, s5
	s_wait_dscnt 0x0
	ds_bpermute_b32 v12, v3, v11
	v_cmp_eq_u32_e64 s62, 26, v10
	s_wait_dscnt 0x0
	v_add_f32_e32 v11, v11, v12
	ds_bpermute_b32 v12, v4, v11
	s_wait_dscnt 0x0
	v_add_f32_e32 v11, v11, v12
	ds_bpermute_b32 v12, v5, v11
	s_wait_dscnt 0x0
	v_add_f32_e32 v11, v11, v12
	ds_bpermute_b32 v12, v6, v11
	s_wait_dscnt 0x0
	v_add_f32_e32 v11, v11, v12
	ds_bpermute_b32 v12, v7, v11
	s_and_saveexec_b32 s5, s62
	s_cbranch_execz .LBB4_133
; %bb.132:
	s_wait_dscnt 0x0
	v_dual_mov_b32 v13, 0 :: v_dual_add_f32 v11, v11, v12
	ds_load_b32 v13, v13 offset:6760
	s_wait_loadcnt 0x0
	v_sub_f32_e32 v8, v8, v11
	s_wait_dscnt 0x0
	s_delay_alu instid0(VALU_DEP_1) | instskip(NEXT) | instid1(VALU_DEP_1)
	v_div_scale_f32 v11, null, v13, v13, v8
	v_rcp_f32_e32 v12, v11
	v_nop
	s_delay_alu instid0(TRANS32_DEP_1) | instskip(NEXT) | instid1(VALU_DEP_1)
	v_fma_f32 v14, -v11, v12, 1.0
	v_fmac_f32_e32 v12, v14, v12
	v_div_scale_f32 v14, vcc_lo, v8, v13, v8
	s_delay_alu instid0(VALU_DEP_1) | instskip(NEXT) | instid1(VALU_DEP_1)
	v_mul_f32_e32 v15, v14, v12
	v_fma_f32 v16, -v11, v15, v14
	s_delay_alu instid0(VALU_DEP_1) | instskip(NEXT) | instid1(VALU_DEP_1)
	v_fmac_f32_e32 v15, v16, v12
	v_fma_f32 v11, -v11, v15, v14
	s_delay_alu instid0(VALU_DEP_1) | instskip(NEXT) | instid1(VALU_DEP_1)
	v_div_fmas_f32 v11, v11, v12, v15
	v_div_fixup_f32 v8, v11, v13, v8
.LBB4_133:
	s_or_b32 exec_lo, exec_lo, s5
	v_cmp_gt_u32_e64 s31, 27, v10
	v_mov_b32_e32 v11, 0
	s_and_saveexec_b32 s5, s31
	s_cbranch_execz .LBB4_135
; %bb.134:
	ds_load_b32 v11, v2 offset:6912
	s_wait_loadcnt_dscnt 0x0
	v_fma_f32 v11, v8, v11, 0
.LBB4_135:
	s_or_b32 exec_lo, exec_lo, s5
	s_wait_dscnt 0x0
	ds_bpermute_b32 v12, v3, v11
	v_cmp_eq_u32_e64 s63, 27, v10
	s_wait_dscnt 0x0
	v_add_f32_e32 v11, v11, v12
	ds_bpermute_b32 v12, v4, v11
	s_wait_dscnt 0x0
	v_add_f32_e32 v11, v11, v12
	ds_bpermute_b32 v12, v5, v11
	s_wait_dscnt 0x0
	v_add_f32_e32 v11, v11, v12
	ds_bpermute_b32 v12, v6, v11
	s_wait_dscnt 0x0
	v_add_f32_e32 v11, v11, v12
	ds_bpermute_b32 v12, v7, v11
	s_and_saveexec_b32 s5, s63
	s_cbranch_execz .LBB4_137
; %bb.136:
	s_wait_dscnt 0x0
	v_dual_mov_b32 v13, 0 :: v_dual_add_f32 v11, v11, v12
	ds_load_b32 v13, v13 offset:7020
	s_wait_loadcnt 0x0
	v_sub_f32_e32 v8, v8, v11
	s_wait_dscnt 0x0
	s_delay_alu instid0(VALU_DEP_1) | instskip(NEXT) | instid1(VALU_DEP_1)
	v_div_scale_f32 v11, null, v13, v13, v8
	v_rcp_f32_e32 v12, v11
	v_nop
	s_delay_alu instid0(TRANS32_DEP_1) | instskip(NEXT) | instid1(VALU_DEP_1)
	v_fma_f32 v14, -v11, v12, 1.0
	v_fmac_f32_e32 v12, v14, v12
	v_div_scale_f32 v14, vcc_lo, v8, v13, v8
	s_delay_alu instid0(VALU_DEP_1) | instskip(NEXT) | instid1(VALU_DEP_1)
	v_mul_f32_e32 v15, v14, v12
	v_fma_f32 v16, -v11, v15, v14
	s_delay_alu instid0(VALU_DEP_1) | instskip(NEXT) | instid1(VALU_DEP_1)
	v_fmac_f32_e32 v15, v16, v12
	v_fma_f32 v11, -v11, v15, v14
	s_delay_alu instid0(VALU_DEP_1) | instskip(NEXT) | instid1(VALU_DEP_1)
	v_div_fmas_f32 v11, v11, v12, v15
	v_div_fixup_f32 v8, v11, v13, v8
.LBB4_137:
	s_or_b32 exec_lo, exec_lo, s5
	v_cmp_gt_u32_e64 s33, 28, v10
	v_mov_b32_e32 v11, 0
	s_and_saveexec_b32 s5, s33
	s_cbranch_execz .LBB4_139
; %bb.138:
	ds_load_b32 v11, v2 offset:7168
	s_wait_loadcnt_dscnt 0x0
	v_fma_f32 v11, v8, v11, 0
.LBB4_139:
	s_or_b32 exec_lo, exec_lo, s5
	s_wait_dscnt 0x0
	ds_bpermute_b32 v12, v3, v11
	v_cmp_eq_u32_e64 s64, 28, v10
	s_wait_dscnt 0x0
	v_add_f32_e32 v11, v11, v12
	ds_bpermute_b32 v12, v4, v11
	s_wait_dscnt 0x0
	v_add_f32_e32 v11, v11, v12
	ds_bpermute_b32 v12, v5, v11
	s_wait_dscnt 0x0
	v_add_f32_e32 v11, v11, v12
	ds_bpermute_b32 v12, v6, v11
	s_wait_dscnt 0x0
	v_add_f32_e32 v11, v11, v12
	ds_bpermute_b32 v12, v7, v11
	s_and_saveexec_b32 s5, s64
	s_cbranch_execz .LBB4_141
; %bb.140:
	s_wait_dscnt 0x0
	v_dual_mov_b32 v13, 0 :: v_dual_add_f32 v11, v11, v12
	ds_load_b32 v13, v13 offset:7280
	s_wait_loadcnt 0x0
	v_sub_f32_e32 v8, v8, v11
	s_wait_dscnt 0x0
	s_delay_alu instid0(VALU_DEP_1) | instskip(NEXT) | instid1(VALU_DEP_1)
	v_div_scale_f32 v11, null, v13, v13, v8
	v_rcp_f32_e32 v12, v11
	v_nop
	s_delay_alu instid0(TRANS32_DEP_1) | instskip(NEXT) | instid1(VALU_DEP_1)
	v_fma_f32 v14, -v11, v12, 1.0
	v_fmac_f32_e32 v12, v14, v12
	v_div_scale_f32 v14, vcc_lo, v8, v13, v8
	s_delay_alu instid0(VALU_DEP_1) | instskip(NEXT) | instid1(VALU_DEP_1)
	v_mul_f32_e32 v15, v14, v12
	v_fma_f32 v16, -v11, v15, v14
	s_delay_alu instid0(VALU_DEP_1) | instskip(NEXT) | instid1(VALU_DEP_1)
	v_fmac_f32_e32 v15, v16, v12
	v_fma_f32 v11, -v11, v15, v14
	s_delay_alu instid0(VALU_DEP_1) | instskip(NEXT) | instid1(VALU_DEP_1)
	v_div_fmas_f32 v11, v11, v12, v15
	v_div_fixup_f32 v8, v11, v13, v8
.LBB4_141:
	s_or_b32 exec_lo, exec_lo, s5
	v_cmp_gt_u32_e64 s34, 29, v10
	v_mov_b32_e32 v11, 0
	s_and_saveexec_b32 s5, s34
	s_cbranch_execz .LBB4_143
; %bb.142:
	ds_load_b32 v11, v2 offset:7424
	s_wait_loadcnt_dscnt 0x0
	v_fma_f32 v11, v8, v11, 0
.LBB4_143:
	s_or_b32 exec_lo, exec_lo, s5
	s_wait_dscnt 0x0
	ds_bpermute_b32 v12, v3, v11
	v_cmp_eq_u32_e64 s65, 29, v10
	s_wait_dscnt 0x0
	v_add_f32_e32 v11, v11, v12
	ds_bpermute_b32 v12, v4, v11
	s_wait_dscnt 0x0
	v_add_f32_e32 v11, v11, v12
	ds_bpermute_b32 v12, v5, v11
	s_wait_dscnt 0x0
	v_add_f32_e32 v11, v11, v12
	ds_bpermute_b32 v12, v6, v11
	s_wait_dscnt 0x0
	v_add_f32_e32 v11, v11, v12
	ds_bpermute_b32 v12, v7, v11
	s_and_saveexec_b32 s5, s65
	s_cbranch_execz .LBB4_145
; %bb.144:
	s_wait_dscnt 0x0
	v_dual_mov_b32 v13, 0 :: v_dual_add_f32 v11, v11, v12
	ds_load_b32 v13, v13 offset:7540
	s_wait_loadcnt 0x0
	v_sub_f32_e32 v8, v8, v11
	s_wait_dscnt 0x0
	s_delay_alu instid0(VALU_DEP_1) | instskip(NEXT) | instid1(VALU_DEP_1)
	v_div_scale_f32 v11, null, v13, v13, v8
	v_rcp_f32_e32 v12, v11
	v_nop
	s_delay_alu instid0(TRANS32_DEP_1) | instskip(NEXT) | instid1(VALU_DEP_1)
	v_fma_f32 v14, -v11, v12, 1.0
	v_fmac_f32_e32 v12, v14, v12
	v_div_scale_f32 v14, vcc_lo, v8, v13, v8
	s_delay_alu instid0(VALU_DEP_1) | instskip(NEXT) | instid1(VALU_DEP_1)
	v_mul_f32_e32 v15, v14, v12
	v_fma_f32 v16, -v11, v15, v14
	s_delay_alu instid0(VALU_DEP_1) | instskip(NEXT) | instid1(VALU_DEP_1)
	v_fmac_f32_e32 v15, v16, v12
	v_fma_f32 v11, -v11, v15, v14
	s_delay_alu instid0(VALU_DEP_1) | instskip(NEXT) | instid1(VALU_DEP_1)
	v_div_fmas_f32 v11, v11, v12, v15
	v_div_fixup_f32 v8, v11, v13, v8
.LBB4_145:
	s_or_b32 exec_lo, exec_lo, s5
	v_cmp_gt_u32_e64 s35, 30, v10
	v_mov_b32_e32 v11, 0
	s_and_saveexec_b32 s5, s35
	s_cbranch_execz .LBB4_147
; %bb.146:
	ds_load_b32 v11, v2 offset:7680
	s_wait_loadcnt_dscnt 0x0
	v_fma_f32 v11, v8, v11, 0
.LBB4_147:
	s_or_b32 exec_lo, exec_lo, s5
	s_wait_dscnt 0x0
	ds_bpermute_b32 v12, v3, v11
	v_cmp_eq_u32_e64 s66, 30, v10
	s_wait_dscnt 0x0
	v_add_f32_e32 v11, v11, v12
	ds_bpermute_b32 v12, v4, v11
	s_wait_dscnt 0x0
	v_add_f32_e32 v11, v11, v12
	ds_bpermute_b32 v12, v5, v11
	s_wait_dscnt 0x0
	v_add_f32_e32 v11, v11, v12
	ds_bpermute_b32 v12, v6, v11
	s_wait_dscnt 0x0
	v_add_f32_e32 v11, v11, v12
	ds_bpermute_b32 v12, v7, v11
	s_and_saveexec_b32 s5, s66
	s_cbranch_execz .LBB4_149
; %bb.148:
	s_wait_dscnt 0x0
	v_dual_mov_b32 v13, 0 :: v_dual_add_f32 v11, v11, v12
	ds_load_b32 v13, v13 offset:7800
	s_wait_loadcnt 0x0
	v_sub_f32_e32 v8, v8, v11
	s_wait_dscnt 0x0
	s_delay_alu instid0(VALU_DEP_1) | instskip(NEXT) | instid1(VALU_DEP_1)
	v_div_scale_f32 v11, null, v13, v13, v8
	v_rcp_f32_e32 v12, v11
	v_nop
	s_delay_alu instid0(TRANS32_DEP_1) | instskip(NEXT) | instid1(VALU_DEP_1)
	v_fma_f32 v14, -v11, v12, 1.0
	v_fmac_f32_e32 v12, v14, v12
	v_div_scale_f32 v14, vcc_lo, v8, v13, v8
	s_delay_alu instid0(VALU_DEP_1) | instskip(NEXT) | instid1(VALU_DEP_1)
	v_mul_f32_e32 v15, v14, v12
	v_fma_f32 v16, -v11, v15, v14
	s_delay_alu instid0(VALU_DEP_1) | instskip(NEXT) | instid1(VALU_DEP_1)
	v_fmac_f32_e32 v15, v16, v12
	v_fma_f32 v11, -v11, v15, v14
	s_delay_alu instid0(VALU_DEP_1) | instskip(NEXT) | instid1(VALU_DEP_1)
	v_div_fmas_f32 v11, v11, v12, v15
	v_div_fixup_f32 v8, v11, v13, v8
.LBB4_149:
	s_or_b32 exec_lo, exec_lo, s5
	v_cmp_gt_u32_e64 s36, 31, v10
	v_mov_b32_e32 v11, 0
	s_and_saveexec_b32 s5, s36
	s_cbranch_execz .LBB4_151
; %bb.150:
	ds_load_b32 v11, v2 offset:7936
	s_wait_loadcnt_dscnt 0x0
	v_fma_f32 v11, v8, v11, 0
.LBB4_151:
	s_or_b32 exec_lo, exec_lo, s5
	s_wait_dscnt 0x0
	ds_bpermute_b32 v12, v3, v11
	v_cmp_eq_u32_e64 s5, 31, v10
	s_wait_dscnt 0x0
	v_add_f32_e32 v11, v11, v12
	ds_bpermute_b32 v12, v4, v11
	s_wait_dscnt 0x0
	v_add_f32_e32 v11, v11, v12
	ds_bpermute_b32 v12, v5, v11
	s_wait_dscnt 0x0
	v_add_f32_e32 v11, v11, v12
	ds_bpermute_b32 v12, v6, v11
	s_wait_dscnt 0x0
	v_add_f32_e32 v11, v11, v12
	ds_bpermute_b32 v12, v7, v11
	s_and_saveexec_b32 s67, s5
	s_cbranch_execz .LBB4_153
; %bb.152:
	s_wait_dscnt 0x0
	v_dual_mov_b32 v10, 0 :: v_dual_add_f32 v11, v11, v12
	ds_load_b32 v10, v10 offset:8060
	s_wait_loadcnt 0x0
	v_sub_f32_e32 v8, v8, v11
	s_wait_dscnt 0x0
	s_delay_alu instid0(VALU_DEP_1) | instskip(NEXT) | instid1(VALU_DEP_1)
	v_div_scale_f32 v11, null, v10, v10, v8
	v_rcp_f32_e32 v12, v11
	v_nop
	s_delay_alu instid0(TRANS32_DEP_1) | instskip(NEXT) | instid1(VALU_DEP_1)
	v_fma_f32 v13, -v11, v12, 1.0
	v_fmac_f32_e32 v12, v13, v12
	v_div_scale_f32 v13, vcc_lo, v8, v10, v8
	s_delay_alu instid0(VALU_DEP_1) | instskip(NEXT) | instid1(VALU_DEP_1)
	v_mul_f32_e32 v14, v13, v12
	v_fma_f32 v15, -v11, v14, v13
	s_delay_alu instid0(VALU_DEP_1) | instskip(NEXT) | instid1(VALU_DEP_1)
	v_fmac_f32_e32 v14, v15, v12
	v_fma_f32 v11, -v11, v14, v13
	s_delay_alu instid0(VALU_DEP_1) | instskip(NEXT) | instid1(VALU_DEP_1)
	v_div_fmas_f32 v11, v11, v12, v14
	v_div_fixup_f32 v8, v11, v10, v8
.LBB4_153:
	s_or_b32 exec_lo, exec_lo, s67
	ds_load_b32 v10, v2 offset:8192
	s_wait_loadcnt_dscnt 0x0
	v_mul_f32_e32 v11, v8, v10
	ds_bpermute_b32 v11, v3, v11
	s_wait_dscnt 0x0
	v_fmac_f32_e32 v11, v8, v10
	ds_bpermute_b32 v10, v4, v11
	s_wait_dscnt 0x0
	v_add_f32_e32 v10, v11, v10
	ds_bpermute_b32 v11, v5, v10
	s_wait_dscnt 0x0
	v_add_f32_e32 v10, v10, v11
	ds_bpermute_b32 v11, v6, v10
	s_wait_dscnt 0x0
	v_add_f32_e32 v10, v10, v11
	ds_bpermute_b32 v11, v7, v10
	s_and_saveexec_b32 s67, s4
	s_cbranch_execz .LBB4_155
; %bb.154:
	s_wait_dscnt 0x0
	v_dual_mov_b32 v12, 0 :: v_dual_add_f32 v10, v10, v11
	ds_load_b32 v12, v12 offset:8320
	v_sub_f32_e32 v9, v9, v10
	s_wait_dscnt 0x0
	s_delay_alu instid0(VALU_DEP_1) | instskip(NEXT) | instid1(VALU_DEP_1)
	v_div_scale_f32 v10, null, v12, v12, v9
	v_rcp_f32_e32 v11, v10
	v_nop
	s_delay_alu instid0(TRANS32_DEP_1) | instskip(NEXT) | instid1(VALU_DEP_1)
	v_fma_f32 v13, -v10, v11, 1.0
	v_fmac_f32_e32 v11, v13, v11
	v_div_scale_f32 v13, vcc_lo, v9, v12, v9
	s_delay_alu instid0(VALU_DEP_1) | instskip(NEXT) | instid1(VALU_DEP_1)
	v_mul_f32_e32 v14, v13, v11
	v_fma_f32 v15, -v10, v14, v13
	s_delay_alu instid0(VALU_DEP_1) | instskip(NEXT) | instid1(VALU_DEP_1)
	v_fmac_f32_e32 v14, v15, v11
	v_fma_f32 v10, -v10, v14, v13
	s_delay_alu instid0(VALU_DEP_1) | instskip(NEXT) | instid1(VALU_DEP_1)
	v_div_fmas_f32 v10, v10, v11, v14
	v_div_fixup_f32 v9, v10, v12, v9
.LBB4_155:
	s_or_b32 exec_lo, exec_lo, s67
	ds_load_b32 v10, v2 offset:8448
	s_wait_dscnt 0x0
	v_mul_f32_e32 v10, v8, v10
	s_and_saveexec_b32 s67, s4
	s_cbranch_execz .LBB4_157
; %bb.156:
	ds_load_b32 v11, v2 offset:8576
	s_wait_dscnt 0x0
	v_fmac_f32_e32 v10, v9, v11
.LBB4_157:
	s_or_b32 exec_lo, exec_lo, s67
	ds_bpermute_b32 v11, v3, v10
	s_wait_dscnt 0x0
	v_add_f32_e32 v10, v10, v11
	ds_bpermute_b32 v11, v4, v10
	s_wait_dscnt 0x0
	v_add_f32_e32 v10, v10, v11
	ds_bpermute_b32 v11, v5, v10
	s_wait_dscnt 0x0
	v_add_f32_e32 v10, v10, v11
	ds_bpermute_b32 v11, v6, v10
	s_wait_dscnt 0x0
	v_add_f32_e32 v10, v10, v11
	ds_bpermute_b32 v11, v7, v10
	s_and_saveexec_b32 s4, s37
	s_cbranch_execz .LBB4_159
; %bb.158:
	s_wait_dscnt 0x0
	v_dual_mov_b32 v12, 0 :: v_dual_add_f32 v10, v10, v11
	ds_load_b32 v12, v12 offset:8580
	v_sub_f32_e32 v9, v9, v10
	s_wait_dscnt 0x0
	s_delay_alu instid0(VALU_DEP_1) | instskip(NEXT) | instid1(VALU_DEP_1)
	v_div_scale_f32 v10, null, v12, v12, v9
	v_rcp_f32_e32 v11, v10
	v_nop
	s_delay_alu instid0(TRANS32_DEP_1) | instskip(NEXT) | instid1(VALU_DEP_1)
	v_fma_f32 v13, -v10, v11, 1.0
	v_fmac_f32_e32 v11, v13, v11
	v_div_scale_f32 v13, vcc_lo, v9, v12, v9
	s_delay_alu instid0(VALU_DEP_1) | instskip(NEXT) | instid1(VALU_DEP_1)
	v_mul_f32_e32 v14, v13, v11
	v_fma_f32 v15, -v10, v14, v13
	s_delay_alu instid0(VALU_DEP_1) | instskip(NEXT) | instid1(VALU_DEP_1)
	v_fmac_f32_e32 v14, v15, v11
	v_fma_f32 v10, -v10, v14, v13
	s_delay_alu instid0(VALU_DEP_1) | instskip(NEXT) | instid1(VALU_DEP_1)
	v_div_fmas_f32 v10, v10, v11, v14
	v_div_fixup_f32 v9, v10, v12, v9
.LBB4_159:
	s_or_b32 exec_lo, exec_lo, s4
	ds_load_b32 v10, v2 offset:8704
	s_wait_dscnt 0x0
	v_mul_f32_e32 v10, v8, v10
	s_and_saveexec_b32 s4, s6
	s_cbranch_execz .LBB4_161
; %bb.160:
	ds_load_b32 v11, v2 offset:8832
	s_wait_dscnt 0x0
	v_fmac_f32_e32 v10, v9, v11
.LBB4_161:
	s_or_b32 exec_lo, exec_lo, s4
	ds_bpermute_b32 v11, v3, v10
	s_wait_dscnt 0x0
	v_add_f32_e32 v10, v10, v11
	;; [unrolled: 51-line block ×30, first 2 shown]
	ds_bpermute_b32 v11, v4, v10
	s_wait_dscnt 0x0
	v_add_f32_e32 v10, v10, v11
	ds_bpermute_b32 v11, v5, v10
	s_wait_dscnt 0x0
	v_add_f32_e32 v10, v10, v11
	;; [unrolled: 3-line block ×3, first 2 shown]
	ds_bpermute_b32 v11, v7, v10
	s_and_saveexec_b32 s4, s66
	s_cbranch_execz .LBB4_275
; %bb.274:
	s_wait_dscnt 0x0
	v_dual_mov_b32 v12, 0 :: v_dual_add_f32 v10, v10, v11
	ds_load_b32 v12, v12 offset:16120
	v_sub_f32_e32 v9, v9, v10
	s_wait_dscnt 0x0
	s_delay_alu instid0(VALU_DEP_1) | instskip(NEXT) | instid1(VALU_DEP_1)
	v_div_scale_f32 v10, null, v12, v12, v9
	v_rcp_f32_e32 v11, v10
	v_nop
	s_delay_alu instid0(TRANS32_DEP_1) | instskip(NEXT) | instid1(VALU_DEP_1)
	v_fma_f32 v13, -v10, v11, 1.0
	v_fmac_f32_e32 v11, v13, v11
	v_div_scale_f32 v13, vcc_lo, v9, v12, v9
	s_delay_alu instid0(VALU_DEP_1) | instskip(NEXT) | instid1(VALU_DEP_1)
	v_mul_f32_e32 v14, v13, v11
	v_fma_f32 v15, -v10, v14, v13
	s_delay_alu instid0(VALU_DEP_1) | instskip(NEXT) | instid1(VALU_DEP_1)
	v_fmac_f32_e32 v14, v15, v11
	v_fma_f32 v10, -v10, v14, v13
	s_delay_alu instid0(VALU_DEP_1) | instskip(NEXT) | instid1(VALU_DEP_1)
	v_div_fmas_f32 v10, v10, v11, v14
	v_div_fixup_f32 v9, v10, v12, v9
.LBB4_275:
	s_or_b32 exec_lo, exec_lo, s4
	ds_load_b32 v10, v2 offset:16128
	s_wait_dscnt 0x0
	v_mul_f32_e32 v10, v8, v10
	s_and_saveexec_b32 s4, s36
	s_cbranch_execz .LBB4_277
; %bb.276:
	ds_load_b32 v2, v2 offset:16256
	s_wait_dscnt 0x0
	v_fmac_f32_e32 v10, v9, v2
.LBB4_277:
	s_or_b32 exec_lo, exec_lo, s4
	ds_bpermute_b32 v2, v3, v10
	s_load_b64 s[0:1], s[0:1], 0x10
	s_wait_dscnt 0x0
	v_add_f32_e32 v2, v10, v2
	ds_bpermute_b32 v3, v4, v2
	s_wait_dscnt 0x0
	v_add_f32_e32 v2, v2, v3
	ds_bpermute_b32 v3, v5, v2
	;; [unrolled: 3-line block ×4, first 2 shown]
	s_and_saveexec_b32 s4, s5
	s_cbranch_execz .LBB4_279
; %bb.278:
	s_wait_dscnt 0x0
	v_dual_mov_b32 v4, 0 :: v_dual_add_f32 v2, v2, v3
	ds_load_b32 v4, v4 offset:16380
	v_sub_f32_e32 v2, v9, v2
	s_wait_dscnt 0x0
	s_delay_alu instid0(VALU_DEP_1) | instskip(NEXT) | instid1(VALU_DEP_1)
	v_div_scale_f32 v3, null, v4, v4, v2
	v_rcp_f32_e32 v5, v3
	v_nop
	s_delay_alu instid0(TRANS32_DEP_1) | instskip(NEXT) | instid1(VALU_DEP_1)
	v_fma_f32 v6, -v3, v5, 1.0
	v_fmac_f32_e32 v5, v6, v5
	v_div_scale_f32 v6, vcc_lo, v2, v4, v2
	s_delay_alu instid0(VALU_DEP_1) | instskip(NEXT) | instid1(VALU_DEP_1)
	v_mul_f32_e32 v7, v6, v5
	v_fma_f32 v9, -v3, v7, v6
	s_delay_alu instid0(VALU_DEP_1) | instskip(NEXT) | instid1(VALU_DEP_1)
	v_fmac_f32_e32 v7, v9, v5
	v_fma_f32 v3, -v3, v7, v6
	s_delay_alu instid0(VALU_DEP_1) | instskip(NEXT) | instid1(VALU_DEP_1)
	v_div_fmas_f32 v3, v3, v5, v7
	v_div_fixup_f32 v9, v3, v4, v2
.LBB4_279:
	s_or_b32 exec_lo, exec_lo, s4
	s_mul_u64 s[4:5], s[68:69], s[72:73]
	s_mul_u64 s[6:7], s[70:71], s[74:75]
	s_lshl_b64 s[4:5], s[4:5], 2
	s_wait_kmcnt 0x0
	s_add_nc_u64 s[0:1], s[0:1], s[4:5]
	s_lshl_b64 s[4:5], s[6:7], 2
	s_delay_alu instid0(SALU_CYCLE_1)
	s_add_nc_u64 s[0:1], s[0:1], s[4:5]
	s_and_saveexec_b32 s4, s2
	s_cbranch_execz .LBB4_281
; %bb.280:
	v_cndmask_b32_e64 v2, v9, v8, s3
	global_store_b32 v0, v2, s[0:1] scale_offset
.LBB4_281:
	s_wait_xcnt 0x0
	s_or_b32 exec_lo, exec_lo, s4
	s_delay_alu instid0(SALU_CYCLE_1)
	s_and_b32 exec_lo, exec_lo, s3
	s_cbranch_execz .LBB4_283
; %bb.282:
	global_store_b32 v1, v9, s[0:1] scale_offset
.LBB4_283:
	s_endpgm
	.section	.rodata,"a",@progbits
	.p2align	6, 0x0
	.amdhsa_kernel _ZL18solve_tri_f32_fastILi64ELi12EEvPKfS1_Pf15HIP_vector_typeIjLj3EEmmmmmmii
		.amdhsa_group_segment_fixed_size 16384
		.amdhsa_private_segment_fixed_size 0
		.amdhsa_kernarg_size 352
		.amdhsa_user_sgpr_count 2
		.amdhsa_user_sgpr_dispatch_ptr 0
		.amdhsa_user_sgpr_queue_ptr 0
		.amdhsa_user_sgpr_kernarg_segment_ptr 1
		.amdhsa_user_sgpr_dispatch_id 0
		.amdhsa_user_sgpr_kernarg_preload_length 0
		.amdhsa_user_sgpr_kernarg_preload_offset 0
		.amdhsa_user_sgpr_private_segment_size 0
		.amdhsa_wavefront_size32 1
		.amdhsa_uses_dynamic_stack 0
		.amdhsa_enable_private_segment 0
		.amdhsa_system_sgpr_workgroup_id_x 1
		.amdhsa_system_sgpr_workgroup_id_y 0
		.amdhsa_system_sgpr_workgroup_id_z 0
		.amdhsa_system_sgpr_workgroup_info 0
		.amdhsa_system_vgpr_workitem_id 1
		.amdhsa_next_free_vgpr 17
		.amdhsa_next_free_sgpr 76
		.amdhsa_named_barrier_count 0
		.amdhsa_reserve_vcc 1
		.amdhsa_float_round_mode_32 0
		.amdhsa_float_round_mode_16_64 0
		.amdhsa_float_denorm_mode_32 3
		.amdhsa_float_denorm_mode_16_64 3
		.amdhsa_fp16_overflow 0
		.amdhsa_memory_ordered 1
		.amdhsa_forward_progress 1
		.amdhsa_inst_pref_size 140
		.amdhsa_round_robin_scheduling 0
		.amdhsa_exception_fp_ieee_invalid_op 0
		.amdhsa_exception_fp_denorm_src 0
		.amdhsa_exception_fp_ieee_div_zero 0
		.amdhsa_exception_fp_ieee_overflow 0
		.amdhsa_exception_fp_ieee_underflow 0
		.amdhsa_exception_fp_ieee_inexact 0
		.amdhsa_exception_int_div_zero 0
	.end_amdhsa_kernel
	.section	.text._ZL18solve_tri_f32_fastILi64ELi12EEvPKfS1_Pf15HIP_vector_typeIjLj3EEmmmmmmii,"axG",@progbits,_ZL18solve_tri_f32_fastILi64ELi12EEvPKfS1_Pf15HIP_vector_typeIjLj3EEmmmmmmii,comdat
.Lfunc_end4:
	.size	_ZL18solve_tri_f32_fastILi64ELi12EEvPKfS1_Pf15HIP_vector_typeIjLj3EEmmmmmmii, .Lfunc_end4-_ZL18solve_tri_f32_fastILi64ELi12EEvPKfS1_Pf15HIP_vector_typeIjLj3EEmmmmmmii
                                        ; -- End function
	.set _ZL18solve_tri_f32_fastILi64ELi12EEvPKfS1_Pf15HIP_vector_typeIjLj3EEmmmmmmii.num_vgpr, 17
	.set _ZL18solve_tri_f32_fastILi64ELi12EEvPKfS1_Pf15HIP_vector_typeIjLj3EEmmmmmmii.num_agpr, 0
	.set _ZL18solve_tri_f32_fastILi64ELi12EEvPKfS1_Pf15HIP_vector_typeIjLj3EEmmmmmmii.numbered_sgpr, 76
	.set _ZL18solve_tri_f32_fastILi64ELi12EEvPKfS1_Pf15HIP_vector_typeIjLj3EEmmmmmmii.num_named_barrier, 0
	.set _ZL18solve_tri_f32_fastILi64ELi12EEvPKfS1_Pf15HIP_vector_typeIjLj3EEmmmmmmii.private_seg_size, 0
	.set _ZL18solve_tri_f32_fastILi64ELi12EEvPKfS1_Pf15HIP_vector_typeIjLj3EEmmmmmmii.uses_vcc, 1
	.set _ZL18solve_tri_f32_fastILi64ELi12EEvPKfS1_Pf15HIP_vector_typeIjLj3EEmmmmmmii.uses_flat_scratch, 0
	.set _ZL18solve_tri_f32_fastILi64ELi12EEvPKfS1_Pf15HIP_vector_typeIjLj3EEmmmmmmii.has_dyn_sized_stack, 0
	.set _ZL18solve_tri_f32_fastILi64ELi12EEvPKfS1_Pf15HIP_vector_typeIjLj3EEmmmmmmii.has_recursion, 0
	.set _ZL18solve_tri_f32_fastILi64ELi12EEvPKfS1_Pf15HIP_vector_typeIjLj3EEmmmmmmii.has_indirect_call, 0
	.section	.AMDGPU.csdata,"",@progbits
; Kernel info:
; codeLenInByte = 17800
; TotalNumSgprs: 78
; NumVgprs: 17
; ScratchSize: 0
; MemoryBound: 0
; FloatMode: 240
; IeeeMode: 1
; LDSByteSize: 16384 bytes/workgroup (compile time only)
; SGPRBlocks: 0
; VGPRBlocks: 1
; NumSGPRsForWavesPerEU: 78
; NumVGPRsForWavesPerEU: 17
; NamedBarCnt: 0
; Occupancy: 16
; WaveLimiterHint : 0
; COMPUTE_PGM_RSRC2:SCRATCH_EN: 0
; COMPUTE_PGM_RSRC2:USER_SGPR: 2
; COMPUTE_PGM_RSRC2:TRAP_HANDLER: 0
; COMPUTE_PGM_RSRC2:TGID_X_EN: 1
; COMPUTE_PGM_RSRC2:TGID_Y_EN: 0
; COMPUTE_PGM_RSRC2:TGID_Z_EN: 0
; COMPUTE_PGM_RSRC2:TIDIG_COMP_CNT: 1
	.section	.text._ZL18solve_tri_f32_fastILi64ELi10EEvPKfS1_Pf15HIP_vector_typeIjLj3EEmmmmmmii,"axG",@progbits,_ZL18solve_tri_f32_fastILi64ELi10EEvPKfS1_Pf15HIP_vector_typeIjLj3EEmmmmmmii,comdat
	.globl	_ZL18solve_tri_f32_fastILi64ELi10EEvPKfS1_Pf15HIP_vector_typeIjLj3EEmmmmmmii ; -- Begin function _ZL18solve_tri_f32_fastILi64ELi10EEvPKfS1_Pf15HIP_vector_typeIjLj3EEmmmmmmii
	.p2align	8
	.type	_ZL18solve_tri_f32_fastILi64ELi10EEvPKfS1_Pf15HIP_vector_typeIjLj3EEmmmmmmii,@function
_ZL18solve_tri_f32_fastILi64ELi10EEvPKfS1_Pf15HIP_vector_typeIjLj3EEmmmmmmii: ; @_ZL18solve_tri_f32_fastILi64ELi10EEvPKfS1_Pf15HIP_vector_typeIjLj3EEmmmmmmii
; %bb.0:
	v_bfe_u32 v1, v0, 10, 10
	s_mov_b32 s2, exec_lo
	s_delay_alu instid0(VALU_DEP_1)
	v_cmpx_gt_u32_e32 10, v1
	s_cbranch_execz .LBB5_287
; %bb.1:
	s_clause 0x2
	s_load_b96 s[12:14], s[0:1], 0x18
	s_load_b32 s15, s[0:1], 0x6c
	s_load_b256 s[4:11], s[0:1], 0x28
	s_bfe_u32 s16, ttmp6, 0x4000c
	s_and_b32 s17, ttmp6, 15
	s_add_co_i32 s16, s16, 1
	s_load_b64 s[2:3], s[0:1], 0x0
	s_mul_i32 s16, ttmp9, s16
	s_getreg_b32 s18, hwreg(HW_REG_IB_STS2, 6, 4)
	s_add_co_i32 s17, s17, s16
	s_cmp_eq_u32 s18, 0
	v_and_b32_e32 v10, 0x3ff, v0
	s_cselect_b32 s16, ttmp9, s17
	s_mov_b32 s73, 0
	s_delay_alu instid0(SALU_CYCLE_1)
	s_mov_b32 s75, s73
	s_wait_kmcnt 0x0
	s_mul_hi_u32 s12, s12, s16
	s_and_b32 s15, s15, 0xffff
	s_add_co_i32 s12, s16, s12
	v_mad_u32_u24 v0, v1, s15, v10
	s_lshr_b32 s74, s12, s13
	s_delay_alu instid0(SALU_CYCLE_1) | instskip(SKIP_4) | instid1(SALU_CYCLE_1)
	s_mul_i32 s12, s74, s14
	s_mul_u64 s[6:7], s[6:7], s[74:75]
	s_sub_co_i32 s72, s16, s12
	v_lshlrev_b32_e32 v2, 2, v0
	s_mul_u64 s[4:5], s[4:5], s[72:73]
	s_lshl_b64 s[4:5], s[4:5], 2
	s_delay_alu instid0(SALU_CYCLE_1) | instskip(SKIP_1) | instid1(SALU_CYCLE_1)
	s_add_nc_u64 s[2:3], s[2:3], s[4:5]
	s_lshl_b64 s[4:5], s[6:7], 2
	s_add_nc_u64 s[2:3], s[2:3], s[4:5]
	s_mov_b32 s4, exec_lo
	v_cmpx_gt_u32_e32 0x1000, v0
	s_cbranch_execz .LBB5_3
; %bb.2:
	global_load_b32 v3, v0, s[2:3] scale_offset
	s_wait_loadcnt 0x0
	ds_store_b32 v2, v3
.LBB5_3:
	s_or_b32 exec_lo, exec_lo, s4
	s_delay_alu instid0(SALU_CYCLE_1)
	s_mov_b32 s4, exec_lo
	v_cmpx_gt_u32_e32 0xec0, v0
	s_cbranch_execz .LBB5_5
; %bb.4:
	global_load_b32 v3, v0, s[2:3] offset:1280 scale_offset
	s_wait_loadcnt 0x0
	ds_store_b32 v2, v3 offset:1280
.LBB5_5:
	s_or_b32 exec_lo, exec_lo, s4
	s_delay_alu instid0(SALU_CYCLE_1)
	s_mov_b32 s4, exec_lo
	v_cmpx_gt_u32_e32 0xd80, v0
	s_cbranch_execz .LBB5_7
; %bb.6:
	global_load_b32 v3, v0, s[2:3] offset:2560 scale_offset
	s_wait_loadcnt 0x0
	ds_store_b32 v2, v3 offset:2560
.LBB5_7:
	;; [unrolled: 10-line block ×9, first 2 shown]
	s_or_b32 exec_lo, exec_lo, s4
	s_load_b128 s[68:71], s[0:1], 0x48
	s_mov_b32 s4, exec_lo
	v_cmpx_gt_u32_e32 0x380, v0
	s_cbranch_execz .LBB5_23
; %bb.22:
	global_load_b32 v3, v0, s[2:3] offset:12800 scale_offset
	s_wait_loadcnt 0x0
	ds_store_b32 v2, v3 offset:12800
.LBB5_23:
	s_or_b32 exec_lo, exec_lo, s4
	s_delay_alu instid0(SALU_CYCLE_1)
	s_mov_b32 s4, exec_lo
	v_cmpx_gt_u32_e32 0x240, v0
	s_cbranch_execz .LBB5_25
; %bb.24:
	global_load_b32 v3, v0, s[2:3] offset:14080 scale_offset
	s_wait_loadcnt 0x0
	ds_store_b32 v2, v3 offset:14080
.LBB5_25:
	s_or_b32 exec_lo, exec_lo, s4
	s_load_b64 s[4:5], s[0:1], 0x8
	s_mov_b32 s6, exec_lo
	v_cmpx_gt_u32_e32 0x100, v0
	s_cbranch_execz .LBB5_27
; %bb.26:
	global_load_b32 v0, v0, s[2:3] offset:15360 scale_offset
	s_wait_loadcnt 0x0
	ds_store_b32 v2, v0 offset:15360
.LBB5_27:
	s_or_b32 exec_lo, exec_lo, s6
	s_mul_u64 s[2:3], s[8:9], s[72:73]
	s_mul_u64 s[6:7], s[10:11], s[74:75]
	s_lshl_b64 s[2:3], s[2:3], 2
	v_dual_mov_b32 v9, 0 :: v_dual_mov_b32 v8, 0
	s_wait_kmcnt 0x0
	s_add_nc_u64 s[4:5], s[4:5], s[2:3]
	v_cmp_gt_u32_e64 s2, 64, v10
	v_mad_u32_u24 v0, v10, 10, v1
	s_lshl_b64 s[6:7], s[6:7], 2
	s_wait_dscnt 0x0
	s_add_nc_u64 s[4:5], s[4:5], s[6:7]
	s_barrier_signal -1
	s_barrier_wait -1
	s_and_saveexec_b32 s3, s2
	s_cbranch_execz .LBB5_29
; %bb.28:
	global_load_b32 v8, v0, s[4:5] scale_offset
.LBB5_29:
	s_wait_xcnt 0x0
	s_or_b32 exec_lo, exec_lo, s3
	v_add_nc_u32_e32 v2, 32, v10
	v_cmp_gt_u32_e64 s3, 32, v10
	s_delay_alu instid0(VALU_DEP_2)
	v_mad_u32_u24 v1, v2, 10, v1
	s_and_saveexec_b32 s6, s3
	s_cbranch_execz .LBB5_31
; %bb.30:
	global_load_b32 v9, v1, s[4:5] scale_offset
.LBB5_31:
	s_wait_xcnt 0x0
	s_or_b32 exec_lo, exec_lo, s6
	v_cmp_eq_u32_e64 s4, 0, v10
	s_and_saveexec_b32 s5, s4
	s_cbranch_execz .LBB5_33
; %bb.32:
	v_mov_b32_e32 v2, 0
	ds_load_b32 v2, v2
	s_wait_loadcnt_dscnt 0x0
	v_div_scale_f32 v3, null, v2, v2, v8
	s_delay_alu instid0(VALU_DEP_1) | instskip(SKIP_1) | instid1(TRANS32_DEP_1)
	v_rcp_f32_e32 v4, v3
	v_nop
	v_fma_f32 v5, -v3, v4, 1.0
	s_delay_alu instid0(VALU_DEP_1) | instskip(SKIP_1) | instid1(VALU_DEP_1)
	v_fmac_f32_e32 v4, v5, v4
	v_div_scale_f32 v5, vcc_lo, v8, v2, v8
	v_mul_f32_e32 v6, v5, v4
	s_delay_alu instid0(VALU_DEP_1) | instskip(NEXT) | instid1(VALU_DEP_1)
	v_fma_f32 v7, -v3, v6, v5
	v_fmac_f32_e32 v6, v7, v4
	s_delay_alu instid0(VALU_DEP_1) | instskip(NEXT) | instid1(VALU_DEP_1)
	v_fma_f32 v3, -v3, v6, v5
	v_div_fmas_f32 v3, v3, v4, v6
	s_delay_alu instid0(VALU_DEP_1)
	v_div_fixup_f32 v8, v3, v2, v8
.LBB5_33:
	s_or_b32 exec_lo, exec_lo, s5
	v_dual_mov_b32 v5, 0 :: v_dual_lshlrev_b32 v2, 2, v10
	s_and_saveexec_b32 s5, s4
	s_cbranch_execz .LBB5_35
; %bb.34:
	ds_load_b32 v3, v2 offset:256
	s_wait_loadcnt_dscnt 0x0
	v_fma_f32 v5, v8, v3, 0
.LBB5_35:
	s_or_b32 exec_lo, exec_lo, s5
	v_mbcnt_lo_u32_b32 v7, -1, 0
	v_cmp_eq_u32_e64 s37, 1, v10
	s_delay_alu instid0(VALU_DEP_2) | instskip(SKIP_2) | instid1(VALU_DEP_2)
	v_xor_b32_e32 v4, 8, v7
	v_xor_b32_e32 v3, 16, v7
	;; [unrolled: 1-line block ×3, first 2 shown]
	v_cmp_gt_i32_e32 vcc_lo, 32, v3
	v_cndmask_b32_e32 v3, v7, v3, vcc_lo
	v_cmp_gt_i32_e32 vcc_lo, 32, v4
	v_cndmask_b32_e32 v4, v7, v4, vcc_lo
	s_delay_alu instid0(VALU_DEP_1)
	v_dual_lshlrev_b32 v4, 2, v4 :: v_dual_lshlrev_b32 v3, 2, v3
	ds_bpermute_b32 v6, v3, v5
	s_wait_dscnt 0x0
	v_add_f32_e32 v6, v5, v6
	ds_bpermute_b32 v11, v4, v6
	s_wait_dscnt 0x0
	v_add_f32_e32 v11, v6, v11
	v_xor_b32_e32 v6, 2, v7
	v_xor_b32_e32 v5, 4, v7
	s_delay_alu instid0(VALU_DEP_1) | instskip(SKIP_1) | instid1(VALU_DEP_4)
	v_cmp_gt_i32_e32 vcc_lo, 32, v5
	v_cndmask_b32_e32 v5, v7, v5, vcc_lo
	v_cmp_gt_i32_e32 vcc_lo, 32, v6
	s_delay_alu instid0(VALU_DEP_2) | instskip(SKIP_1) | instid1(VALU_DEP_2)
	v_dual_cndmask_b32 v6, v7, v6 :: v_dual_lshlrev_b32 v5, 2, v5
	v_cmp_gt_i32_e32 vcc_lo, 32, v13
	v_dual_cndmask_b32 v7, v7, v13 :: v_dual_lshlrev_b32 v6, 2, v6
	ds_bpermute_b32 v12, v5, v11
	s_wait_dscnt 0x0
	v_dual_lshlrev_b32 v7, 2, v7 :: v_dual_add_f32 v11, v11, v12
	ds_bpermute_b32 v12, v6, v11
	s_wait_dscnt 0x0
	v_add_f32_e32 v11, v11, v12
	ds_bpermute_b32 v12, v7, v11
	s_and_saveexec_b32 s5, s37
	s_cbranch_execz .LBB5_37
; %bb.36:
	s_wait_dscnt 0x0
	v_dual_mov_b32 v13, 0 :: v_dual_add_f32 v11, v11, v12
	ds_load_b32 v13, v13 offset:260
	s_wait_loadcnt 0x0
	v_sub_f32_e32 v8, v8, v11
	s_wait_dscnt 0x0
	s_delay_alu instid0(VALU_DEP_1) | instskip(NEXT) | instid1(VALU_DEP_1)
	v_div_scale_f32 v11, null, v13, v13, v8
	v_rcp_f32_e32 v12, v11
	v_nop
	s_delay_alu instid0(TRANS32_DEP_1) | instskip(NEXT) | instid1(VALU_DEP_1)
	v_fma_f32 v14, -v11, v12, 1.0
	v_fmac_f32_e32 v12, v14, v12
	v_div_scale_f32 v14, vcc_lo, v8, v13, v8
	s_delay_alu instid0(VALU_DEP_1) | instskip(NEXT) | instid1(VALU_DEP_1)
	v_mul_f32_e32 v15, v14, v12
	v_fma_f32 v16, -v11, v15, v14
	s_delay_alu instid0(VALU_DEP_1) | instskip(NEXT) | instid1(VALU_DEP_1)
	v_fmac_f32_e32 v15, v16, v12
	v_fma_f32 v11, -v11, v15, v14
	s_delay_alu instid0(VALU_DEP_1) | instskip(NEXT) | instid1(VALU_DEP_1)
	v_div_fmas_f32 v11, v11, v12, v15
	v_div_fixup_f32 v8, v11, v13, v8
.LBB5_37:
	s_or_b32 exec_lo, exec_lo, s5
	v_cmp_gt_u32_e64 s6, 2, v10
	v_mov_b32_e32 v11, 0
	s_and_saveexec_b32 s5, s6
	s_cbranch_execz .LBB5_39
; %bb.38:
	ds_load_b32 v11, v2 offset:512
	s_wait_loadcnt_dscnt 0x0
	v_fma_f32 v11, v8, v11, 0
.LBB5_39:
	s_or_b32 exec_lo, exec_lo, s5
	s_wait_dscnt 0x0
	ds_bpermute_b32 v12, v3, v11
	v_cmp_eq_u32_e64 s38, 2, v10
	s_wait_dscnt 0x0
	v_add_f32_e32 v11, v11, v12
	ds_bpermute_b32 v12, v4, v11
	s_wait_dscnt 0x0
	v_add_f32_e32 v11, v11, v12
	ds_bpermute_b32 v12, v5, v11
	s_wait_dscnt 0x0
	v_add_f32_e32 v11, v11, v12
	ds_bpermute_b32 v12, v6, v11
	s_wait_dscnt 0x0
	v_add_f32_e32 v11, v11, v12
	ds_bpermute_b32 v12, v7, v11
	s_and_saveexec_b32 s5, s38
	s_cbranch_execz .LBB5_41
; %bb.40:
	s_wait_dscnt 0x0
	v_dual_mov_b32 v13, 0 :: v_dual_add_f32 v11, v11, v12
	ds_load_b32 v13, v13 offset:520
	s_wait_loadcnt 0x0
	v_sub_f32_e32 v8, v8, v11
	s_wait_dscnt 0x0
	s_delay_alu instid0(VALU_DEP_1) | instskip(NEXT) | instid1(VALU_DEP_1)
	v_div_scale_f32 v11, null, v13, v13, v8
	v_rcp_f32_e32 v12, v11
	v_nop
	s_delay_alu instid0(TRANS32_DEP_1) | instskip(NEXT) | instid1(VALU_DEP_1)
	v_fma_f32 v14, -v11, v12, 1.0
	v_fmac_f32_e32 v12, v14, v12
	v_div_scale_f32 v14, vcc_lo, v8, v13, v8
	s_delay_alu instid0(VALU_DEP_1) | instskip(NEXT) | instid1(VALU_DEP_1)
	v_mul_f32_e32 v15, v14, v12
	v_fma_f32 v16, -v11, v15, v14
	s_delay_alu instid0(VALU_DEP_1) | instskip(NEXT) | instid1(VALU_DEP_1)
	v_fmac_f32_e32 v15, v16, v12
	v_fma_f32 v11, -v11, v15, v14
	s_delay_alu instid0(VALU_DEP_1) | instskip(NEXT) | instid1(VALU_DEP_1)
	v_div_fmas_f32 v11, v11, v12, v15
	v_div_fixup_f32 v8, v11, v13, v8
.LBB5_41:
	s_or_b32 exec_lo, exec_lo, s5
	v_cmp_gt_u32_e64 s7, 3, v10
	v_mov_b32_e32 v11, 0
	s_and_saveexec_b32 s5, s7
	s_cbranch_execz .LBB5_43
; %bb.42:
	ds_load_b32 v11, v2 offset:768
	s_wait_loadcnt_dscnt 0x0
	v_fma_f32 v11, v8, v11, 0
.LBB5_43:
	s_or_b32 exec_lo, exec_lo, s5
	s_wait_dscnt 0x0
	ds_bpermute_b32 v12, v3, v11
	v_cmp_eq_u32_e64 s39, 3, v10
	s_wait_dscnt 0x0
	v_add_f32_e32 v11, v11, v12
	ds_bpermute_b32 v12, v4, v11
	s_wait_dscnt 0x0
	v_add_f32_e32 v11, v11, v12
	ds_bpermute_b32 v12, v5, v11
	s_wait_dscnt 0x0
	v_add_f32_e32 v11, v11, v12
	;; [unrolled: 53-line block ×30, first 2 shown]
	ds_bpermute_b32 v12, v6, v11
	s_wait_dscnt 0x0
	v_add_f32_e32 v11, v11, v12
	ds_bpermute_b32 v12, v7, v11
	s_and_saveexec_b32 s67, s5
	s_cbranch_execz .LBB5_157
; %bb.156:
	s_wait_dscnt 0x0
	v_dual_mov_b32 v10, 0 :: v_dual_add_f32 v11, v11, v12
	ds_load_b32 v10, v10 offset:8060
	s_wait_loadcnt 0x0
	v_sub_f32_e32 v8, v8, v11
	s_wait_dscnt 0x0
	s_delay_alu instid0(VALU_DEP_1) | instskip(NEXT) | instid1(VALU_DEP_1)
	v_div_scale_f32 v11, null, v10, v10, v8
	v_rcp_f32_e32 v12, v11
	v_nop
	s_delay_alu instid0(TRANS32_DEP_1) | instskip(NEXT) | instid1(VALU_DEP_1)
	v_fma_f32 v13, -v11, v12, 1.0
	v_fmac_f32_e32 v12, v13, v12
	v_div_scale_f32 v13, vcc_lo, v8, v10, v8
	s_delay_alu instid0(VALU_DEP_1) | instskip(NEXT) | instid1(VALU_DEP_1)
	v_mul_f32_e32 v14, v13, v12
	v_fma_f32 v15, -v11, v14, v13
	s_delay_alu instid0(VALU_DEP_1) | instskip(NEXT) | instid1(VALU_DEP_1)
	v_fmac_f32_e32 v14, v15, v12
	v_fma_f32 v11, -v11, v14, v13
	s_delay_alu instid0(VALU_DEP_1) | instskip(NEXT) | instid1(VALU_DEP_1)
	v_div_fmas_f32 v11, v11, v12, v14
	v_div_fixup_f32 v8, v11, v10, v8
.LBB5_157:
	s_or_b32 exec_lo, exec_lo, s67
	ds_load_b32 v10, v2 offset:8192
	s_wait_loadcnt_dscnt 0x0
	v_mul_f32_e32 v11, v8, v10
	ds_bpermute_b32 v11, v3, v11
	s_wait_dscnt 0x0
	v_fmac_f32_e32 v11, v8, v10
	ds_bpermute_b32 v10, v4, v11
	s_wait_dscnt 0x0
	v_add_f32_e32 v10, v11, v10
	ds_bpermute_b32 v11, v5, v10
	s_wait_dscnt 0x0
	v_add_f32_e32 v10, v10, v11
	ds_bpermute_b32 v11, v6, v10
	s_wait_dscnt 0x0
	v_add_f32_e32 v10, v10, v11
	ds_bpermute_b32 v11, v7, v10
	s_and_saveexec_b32 s67, s4
	s_cbranch_execz .LBB5_159
; %bb.158:
	s_wait_dscnt 0x0
	v_dual_mov_b32 v12, 0 :: v_dual_add_f32 v10, v10, v11
	ds_load_b32 v12, v12 offset:8320
	v_sub_f32_e32 v9, v9, v10
	s_wait_dscnt 0x0
	s_delay_alu instid0(VALU_DEP_1) | instskip(NEXT) | instid1(VALU_DEP_1)
	v_div_scale_f32 v10, null, v12, v12, v9
	v_rcp_f32_e32 v11, v10
	v_nop
	s_delay_alu instid0(TRANS32_DEP_1) | instskip(NEXT) | instid1(VALU_DEP_1)
	v_fma_f32 v13, -v10, v11, 1.0
	v_fmac_f32_e32 v11, v13, v11
	v_div_scale_f32 v13, vcc_lo, v9, v12, v9
	s_delay_alu instid0(VALU_DEP_1) | instskip(NEXT) | instid1(VALU_DEP_1)
	v_mul_f32_e32 v14, v13, v11
	v_fma_f32 v15, -v10, v14, v13
	s_delay_alu instid0(VALU_DEP_1) | instskip(NEXT) | instid1(VALU_DEP_1)
	v_fmac_f32_e32 v14, v15, v11
	v_fma_f32 v10, -v10, v14, v13
	s_delay_alu instid0(VALU_DEP_1) | instskip(NEXT) | instid1(VALU_DEP_1)
	v_div_fmas_f32 v10, v10, v11, v14
	v_div_fixup_f32 v9, v10, v12, v9
.LBB5_159:
	s_or_b32 exec_lo, exec_lo, s67
	ds_load_b32 v10, v2 offset:8448
	s_wait_dscnt 0x0
	v_mul_f32_e32 v10, v8, v10
	s_and_saveexec_b32 s67, s4
	s_cbranch_execz .LBB5_161
; %bb.160:
	ds_load_b32 v11, v2 offset:8576
	s_wait_dscnt 0x0
	v_fmac_f32_e32 v10, v9, v11
.LBB5_161:
	s_or_b32 exec_lo, exec_lo, s67
	ds_bpermute_b32 v11, v3, v10
	s_wait_dscnt 0x0
	v_add_f32_e32 v10, v10, v11
	ds_bpermute_b32 v11, v4, v10
	s_wait_dscnt 0x0
	v_add_f32_e32 v10, v10, v11
	ds_bpermute_b32 v11, v5, v10
	s_wait_dscnt 0x0
	v_add_f32_e32 v10, v10, v11
	ds_bpermute_b32 v11, v6, v10
	s_wait_dscnt 0x0
	v_add_f32_e32 v10, v10, v11
	ds_bpermute_b32 v11, v7, v10
	s_and_saveexec_b32 s4, s37
	s_cbranch_execz .LBB5_163
; %bb.162:
	s_wait_dscnt 0x0
	v_dual_mov_b32 v12, 0 :: v_dual_add_f32 v10, v10, v11
	ds_load_b32 v12, v12 offset:8580
	v_sub_f32_e32 v9, v9, v10
	s_wait_dscnt 0x0
	s_delay_alu instid0(VALU_DEP_1) | instskip(NEXT) | instid1(VALU_DEP_1)
	v_div_scale_f32 v10, null, v12, v12, v9
	v_rcp_f32_e32 v11, v10
	v_nop
	s_delay_alu instid0(TRANS32_DEP_1) | instskip(NEXT) | instid1(VALU_DEP_1)
	v_fma_f32 v13, -v10, v11, 1.0
	v_fmac_f32_e32 v11, v13, v11
	v_div_scale_f32 v13, vcc_lo, v9, v12, v9
	s_delay_alu instid0(VALU_DEP_1) | instskip(NEXT) | instid1(VALU_DEP_1)
	v_mul_f32_e32 v14, v13, v11
	v_fma_f32 v15, -v10, v14, v13
	s_delay_alu instid0(VALU_DEP_1) | instskip(NEXT) | instid1(VALU_DEP_1)
	v_fmac_f32_e32 v14, v15, v11
	v_fma_f32 v10, -v10, v14, v13
	s_delay_alu instid0(VALU_DEP_1) | instskip(NEXT) | instid1(VALU_DEP_1)
	v_div_fmas_f32 v10, v10, v11, v14
	v_div_fixup_f32 v9, v10, v12, v9
.LBB5_163:
	s_or_b32 exec_lo, exec_lo, s4
	ds_load_b32 v10, v2 offset:8704
	s_wait_dscnt 0x0
	v_mul_f32_e32 v10, v8, v10
	s_and_saveexec_b32 s4, s6
	s_cbranch_execz .LBB5_165
; %bb.164:
	ds_load_b32 v11, v2 offset:8832
	s_wait_dscnt 0x0
	v_fmac_f32_e32 v10, v9, v11
.LBB5_165:
	s_or_b32 exec_lo, exec_lo, s4
	ds_bpermute_b32 v11, v3, v10
	s_wait_dscnt 0x0
	v_add_f32_e32 v10, v10, v11
	;; [unrolled: 51-line block ×30, first 2 shown]
	ds_bpermute_b32 v11, v4, v10
	s_wait_dscnt 0x0
	v_add_f32_e32 v10, v10, v11
	ds_bpermute_b32 v11, v5, v10
	s_wait_dscnt 0x0
	v_add_f32_e32 v10, v10, v11
	;; [unrolled: 3-line block ×3, first 2 shown]
	ds_bpermute_b32 v11, v7, v10
	s_and_saveexec_b32 s4, s66
	s_cbranch_execz .LBB5_279
; %bb.278:
	s_wait_dscnt 0x0
	v_dual_mov_b32 v12, 0 :: v_dual_add_f32 v10, v10, v11
	ds_load_b32 v12, v12 offset:16120
	v_sub_f32_e32 v9, v9, v10
	s_wait_dscnt 0x0
	s_delay_alu instid0(VALU_DEP_1) | instskip(NEXT) | instid1(VALU_DEP_1)
	v_div_scale_f32 v10, null, v12, v12, v9
	v_rcp_f32_e32 v11, v10
	v_nop
	s_delay_alu instid0(TRANS32_DEP_1) | instskip(NEXT) | instid1(VALU_DEP_1)
	v_fma_f32 v13, -v10, v11, 1.0
	v_fmac_f32_e32 v11, v13, v11
	v_div_scale_f32 v13, vcc_lo, v9, v12, v9
	s_delay_alu instid0(VALU_DEP_1) | instskip(NEXT) | instid1(VALU_DEP_1)
	v_mul_f32_e32 v14, v13, v11
	v_fma_f32 v15, -v10, v14, v13
	s_delay_alu instid0(VALU_DEP_1) | instskip(NEXT) | instid1(VALU_DEP_1)
	v_fmac_f32_e32 v14, v15, v11
	v_fma_f32 v10, -v10, v14, v13
	s_delay_alu instid0(VALU_DEP_1) | instskip(NEXT) | instid1(VALU_DEP_1)
	v_div_fmas_f32 v10, v10, v11, v14
	v_div_fixup_f32 v9, v10, v12, v9
.LBB5_279:
	s_or_b32 exec_lo, exec_lo, s4
	ds_load_b32 v10, v2 offset:16128
	s_wait_dscnt 0x0
	v_mul_f32_e32 v10, v8, v10
	s_and_saveexec_b32 s4, s36
	s_cbranch_execz .LBB5_281
; %bb.280:
	ds_load_b32 v2, v2 offset:16256
	s_wait_dscnt 0x0
	v_fmac_f32_e32 v10, v9, v2
.LBB5_281:
	s_or_b32 exec_lo, exec_lo, s4
	ds_bpermute_b32 v2, v3, v10
	s_load_b64 s[0:1], s[0:1], 0x10
	s_wait_dscnt 0x0
	v_add_f32_e32 v2, v10, v2
	ds_bpermute_b32 v3, v4, v2
	s_wait_dscnt 0x0
	v_add_f32_e32 v2, v2, v3
	ds_bpermute_b32 v3, v5, v2
	;; [unrolled: 3-line block ×4, first 2 shown]
	s_and_saveexec_b32 s4, s5
	s_cbranch_execz .LBB5_283
; %bb.282:
	s_wait_dscnt 0x0
	v_dual_mov_b32 v4, 0 :: v_dual_add_f32 v2, v2, v3
	ds_load_b32 v4, v4 offset:16380
	v_sub_f32_e32 v2, v9, v2
	s_wait_dscnt 0x0
	s_delay_alu instid0(VALU_DEP_1) | instskip(NEXT) | instid1(VALU_DEP_1)
	v_div_scale_f32 v3, null, v4, v4, v2
	v_rcp_f32_e32 v5, v3
	v_nop
	s_delay_alu instid0(TRANS32_DEP_1) | instskip(NEXT) | instid1(VALU_DEP_1)
	v_fma_f32 v6, -v3, v5, 1.0
	v_fmac_f32_e32 v5, v6, v5
	v_div_scale_f32 v6, vcc_lo, v2, v4, v2
	s_delay_alu instid0(VALU_DEP_1) | instskip(NEXT) | instid1(VALU_DEP_1)
	v_mul_f32_e32 v7, v6, v5
	v_fma_f32 v9, -v3, v7, v6
	s_delay_alu instid0(VALU_DEP_1) | instskip(NEXT) | instid1(VALU_DEP_1)
	v_fmac_f32_e32 v7, v9, v5
	v_fma_f32 v3, -v3, v7, v6
	s_delay_alu instid0(VALU_DEP_1) | instskip(NEXT) | instid1(VALU_DEP_1)
	v_div_fmas_f32 v3, v3, v5, v7
	v_div_fixup_f32 v9, v3, v4, v2
.LBB5_283:
	s_or_b32 exec_lo, exec_lo, s4
	s_mul_u64 s[4:5], s[68:69], s[72:73]
	s_mul_u64 s[6:7], s[70:71], s[74:75]
	s_lshl_b64 s[4:5], s[4:5], 2
	s_wait_kmcnt 0x0
	s_add_nc_u64 s[0:1], s[0:1], s[4:5]
	s_lshl_b64 s[4:5], s[6:7], 2
	s_delay_alu instid0(SALU_CYCLE_1)
	s_add_nc_u64 s[0:1], s[0:1], s[4:5]
	s_and_saveexec_b32 s4, s2
	s_cbranch_execz .LBB5_285
; %bb.284:
	v_cndmask_b32_e64 v2, v9, v8, s3
	global_store_b32 v0, v2, s[0:1] scale_offset
.LBB5_285:
	s_wait_xcnt 0x0
	s_or_b32 exec_lo, exec_lo, s4
	s_delay_alu instid0(SALU_CYCLE_1)
	s_and_b32 exec_lo, exec_lo, s3
	s_cbranch_execz .LBB5_287
; %bb.286:
	global_store_b32 v1, v9, s[0:1] scale_offset
.LBB5_287:
	s_endpgm
	.section	.rodata,"a",@progbits
	.p2align	6, 0x0
	.amdhsa_kernel _ZL18solve_tri_f32_fastILi64ELi10EEvPKfS1_Pf15HIP_vector_typeIjLj3EEmmmmmmii
		.amdhsa_group_segment_fixed_size 16384
		.amdhsa_private_segment_fixed_size 0
		.amdhsa_kernarg_size 352
		.amdhsa_user_sgpr_count 2
		.amdhsa_user_sgpr_dispatch_ptr 0
		.amdhsa_user_sgpr_queue_ptr 0
		.amdhsa_user_sgpr_kernarg_segment_ptr 1
		.amdhsa_user_sgpr_dispatch_id 0
		.amdhsa_user_sgpr_kernarg_preload_length 0
		.amdhsa_user_sgpr_kernarg_preload_offset 0
		.amdhsa_user_sgpr_private_segment_size 0
		.amdhsa_wavefront_size32 1
		.amdhsa_uses_dynamic_stack 0
		.amdhsa_enable_private_segment 0
		.amdhsa_system_sgpr_workgroup_id_x 1
		.amdhsa_system_sgpr_workgroup_id_y 0
		.amdhsa_system_sgpr_workgroup_id_z 0
		.amdhsa_system_sgpr_workgroup_info 0
		.amdhsa_system_vgpr_workitem_id 1
		.amdhsa_next_free_vgpr 17
		.amdhsa_next_free_sgpr 76
		.amdhsa_named_barrier_count 0
		.amdhsa_reserve_vcc 1
		.amdhsa_float_round_mode_32 0
		.amdhsa_float_round_mode_16_64 0
		.amdhsa_float_denorm_mode_32 3
		.amdhsa_float_denorm_mode_16_64 3
		.amdhsa_fp16_overflow 0
		.amdhsa_memory_ordered 1
		.amdhsa_forward_progress 1
		.amdhsa_inst_pref_size 140
		.amdhsa_round_robin_scheduling 0
		.amdhsa_exception_fp_ieee_invalid_op 0
		.amdhsa_exception_fp_denorm_src 0
		.amdhsa_exception_fp_ieee_div_zero 0
		.amdhsa_exception_fp_ieee_overflow 0
		.amdhsa_exception_fp_ieee_underflow 0
		.amdhsa_exception_fp_ieee_inexact 0
		.amdhsa_exception_int_div_zero 0
	.end_amdhsa_kernel
	.section	.text._ZL18solve_tri_f32_fastILi64ELi10EEvPKfS1_Pf15HIP_vector_typeIjLj3EEmmmmmmii,"axG",@progbits,_ZL18solve_tri_f32_fastILi64ELi10EEvPKfS1_Pf15HIP_vector_typeIjLj3EEmmmmmmii,comdat
.Lfunc_end5:
	.size	_ZL18solve_tri_f32_fastILi64ELi10EEvPKfS1_Pf15HIP_vector_typeIjLj3EEmmmmmmii, .Lfunc_end5-_ZL18solve_tri_f32_fastILi64ELi10EEvPKfS1_Pf15HIP_vector_typeIjLj3EEmmmmmmii
                                        ; -- End function
	.set _ZL18solve_tri_f32_fastILi64ELi10EEvPKfS1_Pf15HIP_vector_typeIjLj3EEmmmmmmii.num_vgpr, 17
	.set _ZL18solve_tri_f32_fastILi64ELi10EEvPKfS1_Pf15HIP_vector_typeIjLj3EEmmmmmmii.num_agpr, 0
	.set _ZL18solve_tri_f32_fastILi64ELi10EEvPKfS1_Pf15HIP_vector_typeIjLj3EEmmmmmmii.numbered_sgpr, 76
	.set _ZL18solve_tri_f32_fastILi64ELi10EEvPKfS1_Pf15HIP_vector_typeIjLj3EEmmmmmmii.num_named_barrier, 0
	.set _ZL18solve_tri_f32_fastILi64ELi10EEvPKfS1_Pf15HIP_vector_typeIjLj3EEmmmmmmii.private_seg_size, 0
	.set _ZL18solve_tri_f32_fastILi64ELi10EEvPKfS1_Pf15HIP_vector_typeIjLj3EEmmmmmmii.uses_vcc, 1
	.set _ZL18solve_tri_f32_fastILi64ELi10EEvPKfS1_Pf15HIP_vector_typeIjLj3EEmmmmmmii.uses_flat_scratch, 0
	.set _ZL18solve_tri_f32_fastILi64ELi10EEvPKfS1_Pf15HIP_vector_typeIjLj3EEmmmmmmii.has_dyn_sized_stack, 0
	.set _ZL18solve_tri_f32_fastILi64ELi10EEvPKfS1_Pf15HIP_vector_typeIjLj3EEmmmmmmii.has_recursion, 0
	.set _ZL18solve_tri_f32_fastILi64ELi10EEvPKfS1_Pf15HIP_vector_typeIjLj3EEmmmmmmii.has_indirect_call, 0
	.section	.AMDGPU.csdata,"",@progbits
; Kernel info:
; codeLenInByte = 17896
; TotalNumSgprs: 78
; NumVgprs: 17
; ScratchSize: 0
; MemoryBound: 0
; FloatMode: 240
; IeeeMode: 1
; LDSByteSize: 16384 bytes/workgroup (compile time only)
; SGPRBlocks: 0
; VGPRBlocks: 1
; NumSGPRsForWavesPerEU: 78
; NumVGPRsForWavesPerEU: 17
; NamedBarCnt: 0
; Occupancy: 16
; WaveLimiterHint : 0
; COMPUTE_PGM_RSRC2:SCRATCH_EN: 0
; COMPUTE_PGM_RSRC2:USER_SGPR: 2
; COMPUTE_PGM_RSRC2:TRAP_HANDLER: 0
; COMPUTE_PGM_RSRC2:TGID_X_EN: 1
; COMPUTE_PGM_RSRC2:TGID_Y_EN: 0
; COMPUTE_PGM_RSRC2:TGID_Z_EN: 0
; COMPUTE_PGM_RSRC2:TIDIG_COMP_CNT: 1
	.section	.text._ZL18solve_tri_f32_fastILi64ELi8EEvPKfS1_Pf15HIP_vector_typeIjLj3EEmmmmmmii,"axG",@progbits,_ZL18solve_tri_f32_fastILi64ELi8EEvPKfS1_Pf15HIP_vector_typeIjLj3EEmmmmmmii,comdat
	.globl	_ZL18solve_tri_f32_fastILi64ELi8EEvPKfS1_Pf15HIP_vector_typeIjLj3EEmmmmmmii ; -- Begin function _ZL18solve_tri_f32_fastILi64ELi8EEvPKfS1_Pf15HIP_vector_typeIjLj3EEmmmmmmii
	.p2align	8
	.type	_ZL18solve_tri_f32_fastILi64ELi8EEvPKfS1_Pf15HIP_vector_typeIjLj3EEmmmmmmii,@function
_ZL18solve_tri_f32_fastILi64ELi8EEvPKfS1_Pf15HIP_vector_typeIjLj3EEmmmmmmii: ; @_ZL18solve_tri_f32_fastILi64ELi8EEvPKfS1_Pf15HIP_vector_typeIjLj3EEmmmmmmii
; %bb.0:
	v_bfe_u32 v1, v0, 10, 10
	s_mov_b32 s2, exec_lo
	s_delay_alu instid0(VALU_DEP_1)
	v_cmpx_gt_u32_e32 8, v1
	s_cbranch_execz .LBB6_293
; %bb.1:
	s_clause 0x2
	s_load_b96 s[12:14], s[0:1], 0x18
	s_load_b32 s15, s[0:1], 0x6c
	s_load_b256 s[4:11], s[0:1], 0x28
	s_bfe_u32 s16, ttmp6, 0x4000c
	s_and_b32 s17, ttmp6, 15
	s_add_co_i32 s16, s16, 1
	s_load_b64 s[2:3], s[0:1], 0x0
	s_mul_i32 s16, ttmp9, s16
	s_getreg_b32 s18, hwreg(HW_REG_IB_STS2, 6, 4)
	s_add_co_i32 s17, s17, s16
	s_cmp_eq_u32 s18, 0
	v_and_b32_e32 v0, 0x3ff, v0
	s_cselect_b32 s16, ttmp9, s17
	s_mov_b32 s73, 0
	s_delay_alu instid0(SALU_CYCLE_1)
	s_mov_b32 s75, s73
	s_wait_kmcnt 0x0
	s_mul_hi_u32 s12, s12, s16
	s_and_b32 s15, s15, 0xffff
	s_add_co_i32 s12, s16, s12
	v_mad_u32_u24 v2, v1, s15, v0
	s_lshr_b32 s74, s12, s13
	s_delay_alu instid0(SALU_CYCLE_1) | instskip(SKIP_4) | instid1(SALU_CYCLE_1)
	s_mul_i32 s12, s74, s14
	s_mul_u64 s[6:7], s[6:7], s[74:75]
	s_sub_co_i32 s72, s16, s12
	v_lshlrev_b32_e32 v3, 2, v2
	s_mul_u64 s[4:5], s[4:5], s[72:73]
	s_lshl_b64 s[4:5], s[4:5], 2
	s_delay_alu instid0(SALU_CYCLE_1) | instskip(SKIP_1) | instid1(SALU_CYCLE_1)
	s_add_nc_u64 s[2:3], s[2:3], s[4:5]
	s_lshl_b64 s[4:5], s[6:7], 2
	s_add_nc_u64 s[2:3], s[2:3], s[4:5]
	s_mov_b32 s4, exec_lo
	v_cmpx_gt_u32_e32 0x1000, v2
	s_cbranch_execz .LBB6_3
; %bb.2:
	global_load_b32 v4, v2, s[2:3] scale_offset
	s_wait_loadcnt 0x0
	ds_store_b32 v3, v4
.LBB6_3:
	s_or_b32 exec_lo, exec_lo, s4
	s_delay_alu instid0(SALU_CYCLE_1)
	s_mov_b32 s4, exec_lo
	v_cmpx_gt_u32_e32 0xf00, v2
	s_cbranch_execz .LBB6_5
; %bb.4:
	global_load_b32 v4, v2, s[2:3] offset:1024 scale_offset
	s_wait_loadcnt 0x0
	ds_store_b32 v3, v4 offset:1024
.LBB6_5:
	s_or_b32 exec_lo, exec_lo, s4
	s_delay_alu instid0(SALU_CYCLE_1)
	s_mov_b32 s4, exec_lo
	v_cmpx_gt_u32_e32 0xe00, v2
	s_cbranch_execz .LBB6_7
; %bb.6:
	global_load_b32 v4, v2, s[2:3] offset:2048 scale_offset
	s_wait_loadcnt 0x0
	ds_store_b32 v3, v4 offset:2048
.LBB6_7:
	;; [unrolled: 10-line block ×12, first 2 shown]
	s_or_b32 exec_lo, exec_lo, s4
	s_load_b128 s[68:71], s[0:1], 0x48
	s_mov_b32 s4, exec_lo
	v_cmpx_gt_u32_e32 0x300, v2
	s_cbranch_execz .LBB6_29
; %bb.28:
	global_load_b32 v4, v2, s[2:3] offset:13312 scale_offset
	s_wait_loadcnt 0x0
	ds_store_b32 v3, v4 offset:13312
.LBB6_29:
	s_or_b32 exec_lo, exec_lo, s4
	s_delay_alu instid0(SALU_CYCLE_1)
	s_mov_b32 s4, exec_lo
	v_cmpx_gt_u32_e32 0x200, v2
	s_cbranch_execz .LBB6_31
; %bb.30:
	global_load_b32 v4, v2, s[2:3] offset:14336 scale_offset
	s_wait_loadcnt 0x0
	ds_store_b32 v3, v4 offset:14336
.LBB6_31:
	s_or_b32 exec_lo, exec_lo, s4
	s_load_b64 s[4:5], s[0:1], 0x8
	s_mov_b32 s6, exec_lo
	v_cmpx_gt_u32_e32 0x100, v2
	s_cbranch_execz .LBB6_33
; %bb.32:
	global_load_b32 v2, v2, s[2:3] offset:15360 scale_offset
	s_wait_loadcnt 0x0
	ds_store_b32 v3, v2 offset:15360
.LBB6_33:
	s_or_b32 exec_lo, exec_lo, s6
	s_mul_u64 s[2:3], s[8:9], s[72:73]
	s_mul_u64 s[6:7], s[10:11], s[74:75]
	s_lshl_b64 s[2:3], s[2:3], 2
	v_dual_mov_b32 v10, 0 :: v_dual_lshlrev_b32 v1, 2, v1
	s_wait_kmcnt 0x0
	s_add_nc_u64 s[4:5], s[4:5], s[2:3]
	v_cmp_gt_u32_e64 s2, 64, v0
	v_mov_b32_e32 v9, 0
	s_lshl_b64 s[6:7], s[6:7], 2
	s_wait_dscnt 0x0
	s_add_nc_u64 s[4:5], s[4:5], s[6:7]
	s_barrier_signal -1
	s_barrier_wait -1
	s_and_saveexec_b32 s3, s2
	s_cbranch_execz .LBB6_35
; %bb.34:
	v_lshl_or_b32 v2, v0, 5, v1
	global_load_b32 v9, v2, s[4:5]
.LBB6_35:
	s_wait_xcnt 0x0
	s_or_b32 exec_lo, exec_lo, s3
	v_add_nc_u32_e32 v2, 32, v0
	v_cmp_gt_u32_e64 s3, 32, v0
	s_and_saveexec_b32 s6, s3
	s_cbranch_execz .LBB6_37
; %bb.36:
	v_lshl_or_b32 v3, v2, 5, v1
	global_load_b32 v10, v3, s[4:5]
.LBB6_37:
	s_wait_xcnt 0x0
	s_or_b32 exec_lo, exec_lo, s6
	v_cmp_eq_u32_e64 s4, 0, v0
	s_and_saveexec_b32 s5, s4
	s_cbranch_execz .LBB6_39
; %bb.38:
	v_mov_b32_e32 v3, 0
	ds_load_b32 v3, v3
	s_wait_loadcnt_dscnt 0x0
	v_div_scale_f32 v4, null, v3, v3, v9
	s_delay_alu instid0(VALU_DEP_1) | instskip(SKIP_1) | instid1(TRANS32_DEP_1)
	v_rcp_f32_e32 v5, v4
	v_nop
	v_fma_f32 v6, -v4, v5, 1.0
	s_delay_alu instid0(VALU_DEP_1) | instskip(SKIP_1) | instid1(VALU_DEP_1)
	v_fmac_f32_e32 v5, v6, v5
	v_div_scale_f32 v6, vcc_lo, v9, v3, v9
	v_mul_f32_e32 v7, v6, v5
	s_delay_alu instid0(VALU_DEP_1) | instskip(NEXT) | instid1(VALU_DEP_1)
	v_fma_f32 v8, -v4, v7, v6
	v_fmac_f32_e32 v7, v8, v5
	s_delay_alu instid0(VALU_DEP_1) | instskip(NEXT) | instid1(VALU_DEP_1)
	v_fma_f32 v4, -v4, v7, v6
	v_div_fmas_f32 v4, v4, v5, v7
	s_delay_alu instid0(VALU_DEP_1)
	v_div_fixup_f32 v9, v4, v3, v9
.LBB6_39:
	s_or_b32 exec_lo, exec_lo, s5
	v_dual_mov_b32 v6, 0 :: v_dual_lshlrev_b32 v3, 2, v0
	s_and_saveexec_b32 s5, s4
	s_cbranch_execz .LBB6_41
; %bb.40:
	ds_load_b32 v4, v3 offset:256
	s_wait_loadcnt_dscnt 0x0
	v_fma_f32 v6, v9, v4, 0
.LBB6_41:
	s_or_b32 exec_lo, exec_lo, s5
	v_mbcnt_lo_u32_b32 v8, -1, 0
	v_cmp_eq_u32_e64 s37, 1, v0
	s_delay_alu instid0(VALU_DEP_2) | instskip(SKIP_2) | instid1(VALU_DEP_2)
	v_xor_b32_e32 v5, 8, v8
	v_xor_b32_e32 v4, 16, v8
	;; [unrolled: 1-line block ×3, first 2 shown]
	v_cmp_gt_i32_e32 vcc_lo, 32, v4
	v_cndmask_b32_e32 v4, v8, v4, vcc_lo
	v_cmp_gt_i32_e32 vcc_lo, 32, v5
	v_cndmask_b32_e32 v5, v8, v5, vcc_lo
	s_delay_alu instid0(VALU_DEP_1)
	v_dual_lshlrev_b32 v5, 2, v5 :: v_dual_lshlrev_b32 v4, 2, v4
	ds_bpermute_b32 v7, v4, v6
	s_wait_dscnt 0x0
	v_add_f32_e32 v7, v6, v7
	ds_bpermute_b32 v11, v5, v7
	s_wait_dscnt 0x0
	v_dual_add_f32 v11, v7, v11 :: v_dual_bitop2_b32 v6, 4, v8 bitop3:0x14
	s_delay_alu instid0(VALU_DEP_1) | instskip(SKIP_1) | instid1(VALU_DEP_1)
	v_cmp_gt_i32_e32 vcc_lo, 32, v6
	v_dual_cndmask_b32 v6, v8, v6, vcc_lo :: v_dual_bitop2_b32 v7, 2, v8 bitop3:0x14
	v_cmp_gt_i32_e32 vcc_lo, 32, v7
	s_delay_alu instid0(VALU_DEP_2) | instskip(SKIP_4) | instid1(VALU_DEP_2)
	v_lshlrev_b32_e32 v6, 2, v6
	ds_bpermute_b32 v12, v6, v11
	v_cndmask_b32_e32 v7, v8, v7, vcc_lo
	v_cmp_gt_i32_e32 vcc_lo, 32, v13
	s_wait_dscnt 0x0
	v_dual_add_f32 v11, v11, v12 :: v_dual_lshlrev_b32 v7, 2, v7
	ds_bpermute_b32 v12, v7, v11
	s_wait_dscnt 0x0
	v_dual_cndmask_b32 v8, v8, v13 :: v_dual_add_f32 v11, v11, v12
	s_delay_alu instid0(VALU_DEP_1)
	v_lshlrev_b32_e32 v8, 2, v8
	ds_bpermute_b32 v12, v8, v11
	s_and_saveexec_b32 s5, s37
	s_cbranch_execz .LBB6_43
; %bb.42:
	s_wait_dscnt 0x0
	v_dual_mov_b32 v13, 0 :: v_dual_add_f32 v11, v11, v12
	ds_load_b32 v13, v13 offset:260
	s_wait_loadcnt 0x0
	v_sub_f32_e32 v9, v9, v11
	s_wait_dscnt 0x0
	s_delay_alu instid0(VALU_DEP_1) | instskip(NEXT) | instid1(VALU_DEP_1)
	v_div_scale_f32 v11, null, v13, v13, v9
	v_rcp_f32_e32 v12, v11
	v_nop
	s_delay_alu instid0(TRANS32_DEP_1) | instskip(NEXT) | instid1(VALU_DEP_1)
	v_fma_f32 v14, -v11, v12, 1.0
	v_fmac_f32_e32 v12, v14, v12
	v_div_scale_f32 v14, vcc_lo, v9, v13, v9
	s_delay_alu instid0(VALU_DEP_1) | instskip(NEXT) | instid1(VALU_DEP_1)
	v_mul_f32_e32 v15, v14, v12
	v_fma_f32 v16, -v11, v15, v14
	s_delay_alu instid0(VALU_DEP_1) | instskip(NEXT) | instid1(VALU_DEP_1)
	v_fmac_f32_e32 v15, v16, v12
	v_fma_f32 v11, -v11, v15, v14
	s_delay_alu instid0(VALU_DEP_1) | instskip(NEXT) | instid1(VALU_DEP_1)
	v_div_fmas_f32 v11, v11, v12, v15
	v_div_fixup_f32 v9, v11, v13, v9
.LBB6_43:
	s_or_b32 exec_lo, exec_lo, s5
	v_cmp_gt_u32_e64 s6, 2, v0
	v_mov_b32_e32 v11, 0
	s_and_saveexec_b32 s5, s6
	s_cbranch_execz .LBB6_45
; %bb.44:
	ds_load_b32 v11, v3 offset:512
	s_wait_loadcnt_dscnt 0x0
	v_fma_f32 v11, v9, v11, 0
.LBB6_45:
	s_or_b32 exec_lo, exec_lo, s5
	s_wait_dscnt 0x0
	ds_bpermute_b32 v12, v4, v11
	v_cmp_eq_u32_e64 s38, 2, v0
	s_wait_dscnt 0x0
	v_add_f32_e32 v11, v11, v12
	ds_bpermute_b32 v12, v5, v11
	s_wait_dscnt 0x0
	v_add_f32_e32 v11, v11, v12
	ds_bpermute_b32 v12, v6, v11
	s_wait_dscnt 0x0
	v_add_f32_e32 v11, v11, v12
	ds_bpermute_b32 v12, v7, v11
	s_wait_dscnt 0x0
	v_add_f32_e32 v11, v11, v12
	ds_bpermute_b32 v12, v8, v11
	s_and_saveexec_b32 s5, s38
	s_cbranch_execz .LBB6_47
; %bb.46:
	s_wait_dscnt 0x0
	v_dual_mov_b32 v13, 0 :: v_dual_add_f32 v11, v11, v12
	ds_load_b32 v13, v13 offset:520
	s_wait_loadcnt 0x0
	v_sub_f32_e32 v9, v9, v11
	s_wait_dscnt 0x0
	s_delay_alu instid0(VALU_DEP_1) | instskip(NEXT) | instid1(VALU_DEP_1)
	v_div_scale_f32 v11, null, v13, v13, v9
	v_rcp_f32_e32 v12, v11
	v_nop
	s_delay_alu instid0(TRANS32_DEP_1) | instskip(NEXT) | instid1(VALU_DEP_1)
	v_fma_f32 v14, -v11, v12, 1.0
	v_fmac_f32_e32 v12, v14, v12
	v_div_scale_f32 v14, vcc_lo, v9, v13, v9
	s_delay_alu instid0(VALU_DEP_1) | instskip(NEXT) | instid1(VALU_DEP_1)
	v_mul_f32_e32 v15, v14, v12
	v_fma_f32 v16, -v11, v15, v14
	s_delay_alu instid0(VALU_DEP_1) | instskip(NEXT) | instid1(VALU_DEP_1)
	v_fmac_f32_e32 v15, v16, v12
	v_fma_f32 v11, -v11, v15, v14
	s_delay_alu instid0(VALU_DEP_1) | instskip(NEXT) | instid1(VALU_DEP_1)
	v_div_fmas_f32 v11, v11, v12, v15
	v_div_fixup_f32 v9, v11, v13, v9
.LBB6_47:
	s_or_b32 exec_lo, exec_lo, s5
	v_cmp_gt_u32_e64 s7, 3, v0
	v_mov_b32_e32 v11, 0
	s_and_saveexec_b32 s5, s7
	s_cbranch_execz .LBB6_49
; %bb.48:
	ds_load_b32 v11, v3 offset:768
	s_wait_loadcnt_dscnt 0x0
	v_fma_f32 v11, v9, v11, 0
.LBB6_49:
	s_or_b32 exec_lo, exec_lo, s5
	s_wait_dscnt 0x0
	ds_bpermute_b32 v12, v4, v11
	v_cmp_eq_u32_e64 s39, 3, v0
	s_wait_dscnt 0x0
	v_add_f32_e32 v11, v11, v12
	ds_bpermute_b32 v12, v5, v11
	s_wait_dscnt 0x0
	v_add_f32_e32 v11, v11, v12
	ds_bpermute_b32 v12, v6, v11
	s_wait_dscnt 0x0
	v_add_f32_e32 v11, v11, v12
	ds_bpermute_b32 v12, v7, v11
	s_wait_dscnt 0x0
	v_add_f32_e32 v11, v11, v12
	;; [unrolled: 53-line block ×30, first 2 shown]
	ds_bpermute_b32 v12, v8, v11
	s_and_saveexec_b32 s67, s5
	s_cbranch_execz .LBB6_163
; %bb.162:
	s_wait_dscnt 0x0
	v_dual_mov_b32 v13, 0 :: v_dual_add_f32 v11, v11, v12
	ds_load_b32 v13, v13 offset:8060
	s_wait_loadcnt 0x0
	v_sub_f32_e32 v9, v9, v11
	s_wait_dscnt 0x0
	s_delay_alu instid0(VALU_DEP_1) | instskip(NEXT) | instid1(VALU_DEP_1)
	v_div_scale_f32 v11, null, v13, v13, v9
	v_rcp_f32_e32 v12, v11
	v_nop
	s_delay_alu instid0(TRANS32_DEP_1) | instskip(NEXT) | instid1(VALU_DEP_1)
	v_fma_f32 v14, -v11, v12, 1.0
	v_fmac_f32_e32 v12, v14, v12
	v_div_scale_f32 v14, vcc_lo, v9, v13, v9
	s_delay_alu instid0(VALU_DEP_1) | instskip(NEXT) | instid1(VALU_DEP_1)
	v_mul_f32_e32 v15, v14, v12
	v_fma_f32 v16, -v11, v15, v14
	s_delay_alu instid0(VALU_DEP_1) | instskip(NEXT) | instid1(VALU_DEP_1)
	v_fmac_f32_e32 v15, v16, v12
	v_fma_f32 v11, -v11, v15, v14
	s_delay_alu instid0(VALU_DEP_1) | instskip(NEXT) | instid1(VALU_DEP_1)
	v_div_fmas_f32 v11, v11, v12, v15
	v_div_fixup_f32 v9, v11, v13, v9
.LBB6_163:
	s_or_b32 exec_lo, exec_lo, s67
	ds_load_b32 v11, v3 offset:8192
	s_wait_loadcnt_dscnt 0x0
	v_mul_f32_e32 v12, v9, v11
	ds_bpermute_b32 v12, v4, v12
	s_wait_dscnt 0x0
	v_fmac_f32_e32 v12, v9, v11
	ds_bpermute_b32 v11, v5, v12
	s_wait_dscnt 0x0
	v_add_f32_e32 v11, v12, v11
	ds_bpermute_b32 v12, v6, v11
	s_wait_dscnt 0x0
	v_add_f32_e32 v11, v11, v12
	ds_bpermute_b32 v12, v7, v11
	s_wait_dscnt 0x0
	v_add_f32_e32 v11, v11, v12
	ds_bpermute_b32 v12, v8, v11
	s_and_saveexec_b32 s67, s4
	s_cbranch_execz .LBB6_165
; %bb.164:
	s_wait_dscnt 0x0
	v_dual_mov_b32 v13, 0 :: v_dual_add_f32 v11, v11, v12
	ds_load_b32 v13, v13 offset:8320
	v_sub_f32_e32 v10, v10, v11
	s_wait_dscnt 0x0
	s_delay_alu instid0(VALU_DEP_1) | instskip(NEXT) | instid1(VALU_DEP_1)
	v_div_scale_f32 v11, null, v13, v13, v10
	v_rcp_f32_e32 v12, v11
	v_nop
	s_delay_alu instid0(TRANS32_DEP_1) | instskip(NEXT) | instid1(VALU_DEP_1)
	v_fma_f32 v14, -v11, v12, 1.0
	v_fmac_f32_e32 v12, v14, v12
	v_div_scale_f32 v14, vcc_lo, v10, v13, v10
	s_delay_alu instid0(VALU_DEP_1) | instskip(NEXT) | instid1(VALU_DEP_1)
	v_mul_f32_e32 v15, v14, v12
	v_fma_f32 v16, -v11, v15, v14
	s_delay_alu instid0(VALU_DEP_1) | instskip(NEXT) | instid1(VALU_DEP_1)
	v_fmac_f32_e32 v15, v16, v12
	v_fma_f32 v11, -v11, v15, v14
	s_delay_alu instid0(VALU_DEP_1) | instskip(NEXT) | instid1(VALU_DEP_1)
	v_div_fmas_f32 v11, v11, v12, v15
	v_div_fixup_f32 v10, v11, v13, v10
.LBB6_165:
	s_or_b32 exec_lo, exec_lo, s67
	ds_load_b32 v11, v3 offset:8448
	s_wait_dscnt 0x0
	v_mul_f32_e32 v11, v9, v11
	s_and_saveexec_b32 s67, s4
	s_cbranch_execz .LBB6_167
; %bb.166:
	ds_load_b32 v12, v3 offset:8576
	s_wait_dscnt 0x0
	v_fmac_f32_e32 v11, v10, v12
.LBB6_167:
	s_or_b32 exec_lo, exec_lo, s67
	ds_bpermute_b32 v12, v4, v11
	s_wait_dscnt 0x0
	v_add_f32_e32 v11, v11, v12
	ds_bpermute_b32 v12, v5, v11
	s_wait_dscnt 0x0
	v_add_f32_e32 v11, v11, v12
	ds_bpermute_b32 v12, v6, v11
	s_wait_dscnt 0x0
	v_add_f32_e32 v11, v11, v12
	ds_bpermute_b32 v12, v7, v11
	s_wait_dscnt 0x0
	v_add_f32_e32 v11, v11, v12
	ds_bpermute_b32 v12, v8, v11
	s_and_saveexec_b32 s4, s37
	s_cbranch_execz .LBB6_169
; %bb.168:
	s_wait_dscnt 0x0
	v_dual_mov_b32 v13, 0 :: v_dual_add_f32 v11, v11, v12
	ds_load_b32 v13, v13 offset:8580
	v_sub_f32_e32 v10, v10, v11
	s_wait_dscnt 0x0
	s_delay_alu instid0(VALU_DEP_1) | instskip(NEXT) | instid1(VALU_DEP_1)
	v_div_scale_f32 v11, null, v13, v13, v10
	v_rcp_f32_e32 v12, v11
	v_nop
	s_delay_alu instid0(TRANS32_DEP_1) | instskip(NEXT) | instid1(VALU_DEP_1)
	v_fma_f32 v14, -v11, v12, 1.0
	v_fmac_f32_e32 v12, v14, v12
	v_div_scale_f32 v14, vcc_lo, v10, v13, v10
	s_delay_alu instid0(VALU_DEP_1) | instskip(NEXT) | instid1(VALU_DEP_1)
	v_mul_f32_e32 v15, v14, v12
	v_fma_f32 v16, -v11, v15, v14
	s_delay_alu instid0(VALU_DEP_1) | instskip(NEXT) | instid1(VALU_DEP_1)
	v_fmac_f32_e32 v15, v16, v12
	v_fma_f32 v11, -v11, v15, v14
	s_delay_alu instid0(VALU_DEP_1) | instskip(NEXT) | instid1(VALU_DEP_1)
	v_div_fmas_f32 v11, v11, v12, v15
	v_div_fixup_f32 v10, v11, v13, v10
.LBB6_169:
	s_or_b32 exec_lo, exec_lo, s4
	ds_load_b32 v11, v3 offset:8704
	s_wait_dscnt 0x0
	v_mul_f32_e32 v11, v9, v11
	s_and_saveexec_b32 s4, s6
	s_cbranch_execz .LBB6_171
; %bb.170:
	ds_load_b32 v12, v3 offset:8832
	s_wait_dscnt 0x0
	v_fmac_f32_e32 v11, v10, v12
.LBB6_171:
	s_or_b32 exec_lo, exec_lo, s4
	ds_bpermute_b32 v12, v4, v11
	s_wait_dscnt 0x0
	v_add_f32_e32 v11, v11, v12
	;; [unrolled: 51-line block ×30, first 2 shown]
	ds_bpermute_b32 v12, v5, v11
	s_wait_dscnt 0x0
	v_add_f32_e32 v11, v11, v12
	ds_bpermute_b32 v12, v6, v11
	s_wait_dscnt 0x0
	v_add_f32_e32 v11, v11, v12
	;; [unrolled: 3-line block ×3, first 2 shown]
	ds_bpermute_b32 v12, v8, v11
	s_and_saveexec_b32 s4, s66
	s_cbranch_execz .LBB6_285
; %bb.284:
	s_wait_dscnt 0x0
	v_dual_mov_b32 v13, 0 :: v_dual_add_f32 v11, v11, v12
	ds_load_b32 v13, v13 offset:16120
	v_sub_f32_e32 v10, v10, v11
	s_wait_dscnt 0x0
	s_delay_alu instid0(VALU_DEP_1) | instskip(NEXT) | instid1(VALU_DEP_1)
	v_div_scale_f32 v11, null, v13, v13, v10
	v_rcp_f32_e32 v12, v11
	v_nop
	s_delay_alu instid0(TRANS32_DEP_1) | instskip(NEXT) | instid1(VALU_DEP_1)
	v_fma_f32 v14, -v11, v12, 1.0
	v_fmac_f32_e32 v12, v14, v12
	v_div_scale_f32 v14, vcc_lo, v10, v13, v10
	s_delay_alu instid0(VALU_DEP_1) | instskip(NEXT) | instid1(VALU_DEP_1)
	v_mul_f32_e32 v15, v14, v12
	v_fma_f32 v16, -v11, v15, v14
	s_delay_alu instid0(VALU_DEP_1) | instskip(NEXT) | instid1(VALU_DEP_1)
	v_fmac_f32_e32 v15, v16, v12
	v_fma_f32 v11, -v11, v15, v14
	s_delay_alu instid0(VALU_DEP_1) | instskip(NEXT) | instid1(VALU_DEP_1)
	v_div_fmas_f32 v11, v11, v12, v15
	v_div_fixup_f32 v10, v11, v13, v10
.LBB6_285:
	s_or_b32 exec_lo, exec_lo, s4
	ds_load_b32 v11, v3 offset:16128
	s_wait_dscnt 0x0
	v_mul_f32_e32 v11, v9, v11
	s_and_saveexec_b32 s4, s36
	s_cbranch_execz .LBB6_287
; %bb.286:
	ds_load_b32 v3, v3 offset:16256
	s_wait_dscnt 0x0
	v_fmac_f32_e32 v11, v10, v3
.LBB6_287:
	s_or_b32 exec_lo, exec_lo, s4
	ds_bpermute_b32 v3, v4, v11
	s_load_b64 s[0:1], s[0:1], 0x10
	s_wait_dscnt 0x0
	v_add_f32_e32 v3, v11, v3
	ds_bpermute_b32 v4, v5, v3
	s_wait_dscnt 0x0
	v_add_f32_e32 v3, v3, v4
	ds_bpermute_b32 v4, v6, v3
	;; [unrolled: 3-line block ×4, first 2 shown]
	s_and_saveexec_b32 s4, s5
	s_cbranch_execz .LBB6_289
; %bb.288:
	s_wait_dscnt 0x0
	v_dual_mov_b32 v5, 0 :: v_dual_add_f32 v3, v3, v4
	ds_load_b32 v5, v5 offset:16380
	v_sub_f32_e32 v3, v10, v3
	s_wait_dscnt 0x0
	s_delay_alu instid0(VALU_DEP_1) | instskip(NEXT) | instid1(VALU_DEP_1)
	v_div_scale_f32 v4, null, v5, v5, v3
	v_rcp_f32_e32 v6, v4
	v_nop
	s_delay_alu instid0(TRANS32_DEP_1) | instskip(NEXT) | instid1(VALU_DEP_1)
	v_fma_f32 v7, -v4, v6, 1.0
	v_fmac_f32_e32 v6, v7, v6
	v_div_scale_f32 v7, vcc_lo, v3, v5, v3
	s_delay_alu instid0(VALU_DEP_1) | instskip(NEXT) | instid1(VALU_DEP_1)
	v_mul_f32_e32 v8, v7, v6
	v_fma_f32 v10, -v4, v8, v7
	s_delay_alu instid0(VALU_DEP_1) | instskip(NEXT) | instid1(VALU_DEP_1)
	v_fmac_f32_e32 v8, v10, v6
	v_fma_f32 v4, -v4, v8, v7
	s_delay_alu instid0(VALU_DEP_1) | instskip(NEXT) | instid1(VALU_DEP_1)
	v_div_fmas_f32 v4, v4, v6, v8
	v_div_fixup_f32 v10, v4, v5, v3
.LBB6_289:
	s_or_b32 exec_lo, exec_lo, s4
	s_mul_u64 s[4:5], s[68:69], s[72:73]
	s_mul_u64 s[6:7], s[70:71], s[74:75]
	s_lshl_b64 s[4:5], s[4:5], 2
	s_wait_kmcnt 0x0
	s_add_nc_u64 s[0:1], s[0:1], s[4:5]
	s_lshl_b64 s[4:5], s[6:7], 2
	s_delay_alu instid0(SALU_CYCLE_1)
	s_add_nc_u64 s[0:1], s[0:1], s[4:5]
	s_and_saveexec_b32 s4, s2
	s_cbranch_execz .LBB6_291
; %bb.290:
	v_lshl_or_b32 v0, v0, 5, v1
	v_cndmask_b32_e64 v3, v10, v9, s3
	global_store_b32 v0, v3, s[0:1]
.LBB6_291:
	s_wait_xcnt 0x0
	s_or_b32 exec_lo, exec_lo, s4
	s_delay_alu instid0(SALU_CYCLE_1)
	s_and_b32 exec_lo, exec_lo, s3
	s_cbranch_execz .LBB6_293
; %bb.292:
	v_lshl_or_b32 v0, v2, 5, v1
	global_store_b32 v0, v10, s[0:1]
.LBB6_293:
	s_endpgm
	.section	.rodata,"a",@progbits
	.p2align	6, 0x0
	.amdhsa_kernel _ZL18solve_tri_f32_fastILi64ELi8EEvPKfS1_Pf15HIP_vector_typeIjLj3EEmmmmmmii
		.amdhsa_group_segment_fixed_size 16384
		.amdhsa_private_segment_fixed_size 0
		.amdhsa_kernarg_size 352
		.amdhsa_user_sgpr_count 2
		.amdhsa_user_sgpr_dispatch_ptr 0
		.amdhsa_user_sgpr_queue_ptr 0
		.amdhsa_user_sgpr_kernarg_segment_ptr 1
		.amdhsa_user_sgpr_dispatch_id 0
		.amdhsa_user_sgpr_kernarg_preload_length 0
		.amdhsa_user_sgpr_kernarg_preload_offset 0
		.amdhsa_user_sgpr_private_segment_size 0
		.amdhsa_wavefront_size32 1
		.amdhsa_uses_dynamic_stack 0
		.amdhsa_enable_private_segment 0
		.amdhsa_system_sgpr_workgroup_id_x 1
		.amdhsa_system_sgpr_workgroup_id_y 0
		.amdhsa_system_sgpr_workgroup_id_z 0
		.amdhsa_system_sgpr_workgroup_info 0
		.amdhsa_system_vgpr_workitem_id 1
		.amdhsa_next_free_vgpr 17
		.amdhsa_next_free_sgpr 76
		.amdhsa_named_barrier_count 0
		.amdhsa_reserve_vcc 1
		.amdhsa_float_round_mode_32 0
		.amdhsa_float_round_mode_16_64 0
		.amdhsa_float_denorm_mode_32 3
		.amdhsa_float_denorm_mode_16_64 3
		.amdhsa_fp16_overflow 0
		.amdhsa_memory_ordered 1
		.amdhsa_forward_progress 1
		.amdhsa_inst_pref_size 142
		.amdhsa_round_robin_scheduling 0
		.amdhsa_exception_fp_ieee_invalid_op 0
		.amdhsa_exception_fp_denorm_src 0
		.amdhsa_exception_fp_ieee_div_zero 0
		.amdhsa_exception_fp_ieee_overflow 0
		.amdhsa_exception_fp_ieee_underflow 0
		.amdhsa_exception_fp_ieee_inexact 0
		.amdhsa_exception_int_div_zero 0
	.end_amdhsa_kernel
	.section	.text._ZL18solve_tri_f32_fastILi64ELi8EEvPKfS1_Pf15HIP_vector_typeIjLj3EEmmmmmmii,"axG",@progbits,_ZL18solve_tri_f32_fastILi64ELi8EEvPKfS1_Pf15HIP_vector_typeIjLj3EEmmmmmmii,comdat
.Lfunc_end6:
	.size	_ZL18solve_tri_f32_fastILi64ELi8EEvPKfS1_Pf15HIP_vector_typeIjLj3EEmmmmmmii, .Lfunc_end6-_ZL18solve_tri_f32_fastILi64ELi8EEvPKfS1_Pf15HIP_vector_typeIjLj3EEmmmmmmii
                                        ; -- End function
	.set _ZL18solve_tri_f32_fastILi64ELi8EEvPKfS1_Pf15HIP_vector_typeIjLj3EEmmmmmmii.num_vgpr, 17
	.set _ZL18solve_tri_f32_fastILi64ELi8EEvPKfS1_Pf15HIP_vector_typeIjLj3EEmmmmmmii.num_agpr, 0
	.set _ZL18solve_tri_f32_fastILi64ELi8EEvPKfS1_Pf15HIP_vector_typeIjLj3EEmmmmmmii.numbered_sgpr, 76
	.set _ZL18solve_tri_f32_fastILi64ELi8EEvPKfS1_Pf15HIP_vector_typeIjLj3EEmmmmmmii.num_named_barrier, 0
	.set _ZL18solve_tri_f32_fastILi64ELi8EEvPKfS1_Pf15HIP_vector_typeIjLj3EEmmmmmmii.private_seg_size, 0
	.set _ZL18solve_tri_f32_fastILi64ELi8EEvPKfS1_Pf15HIP_vector_typeIjLj3EEmmmmmmii.uses_vcc, 1
	.set _ZL18solve_tri_f32_fastILi64ELi8EEvPKfS1_Pf15HIP_vector_typeIjLj3EEmmmmmmii.uses_flat_scratch, 0
	.set _ZL18solve_tri_f32_fastILi64ELi8EEvPKfS1_Pf15HIP_vector_typeIjLj3EEmmmmmmii.has_dyn_sized_stack, 0
	.set _ZL18solve_tri_f32_fastILi64ELi8EEvPKfS1_Pf15HIP_vector_typeIjLj3EEmmmmmmii.has_recursion, 0
	.set _ZL18solve_tri_f32_fastILi64ELi8EEvPKfS1_Pf15HIP_vector_typeIjLj3EEmmmmmmii.has_indirect_call, 0
	.section	.AMDGPU.csdata,"",@progbits
; Kernel info:
; codeLenInByte = 18072
; TotalNumSgprs: 78
; NumVgprs: 17
; ScratchSize: 0
; MemoryBound: 0
; FloatMode: 240
; IeeeMode: 1
; LDSByteSize: 16384 bytes/workgroup (compile time only)
; SGPRBlocks: 0
; VGPRBlocks: 1
; NumSGPRsForWavesPerEU: 78
; NumVGPRsForWavesPerEU: 17
; NamedBarCnt: 0
; Occupancy: 16
; WaveLimiterHint : 0
; COMPUTE_PGM_RSRC2:SCRATCH_EN: 0
; COMPUTE_PGM_RSRC2:USER_SGPR: 2
; COMPUTE_PGM_RSRC2:TRAP_HANDLER: 0
; COMPUTE_PGM_RSRC2:TGID_X_EN: 1
; COMPUTE_PGM_RSRC2:TGID_Y_EN: 0
; COMPUTE_PGM_RSRC2:TGID_Z_EN: 0
; COMPUTE_PGM_RSRC2:TIDIG_COMP_CNT: 1
	.section	.text._ZL18solve_tri_f32_fastILi64ELi6EEvPKfS1_Pf15HIP_vector_typeIjLj3EEmmmmmmii,"axG",@progbits,_ZL18solve_tri_f32_fastILi64ELi6EEvPKfS1_Pf15HIP_vector_typeIjLj3EEmmmmmmii,comdat
	.globl	_ZL18solve_tri_f32_fastILi64ELi6EEvPKfS1_Pf15HIP_vector_typeIjLj3EEmmmmmmii ; -- Begin function _ZL18solve_tri_f32_fastILi64ELi6EEvPKfS1_Pf15HIP_vector_typeIjLj3EEmmmmmmii
	.p2align	8
	.type	_ZL18solve_tri_f32_fastILi64ELi6EEvPKfS1_Pf15HIP_vector_typeIjLj3EEmmmmmmii,@function
_ZL18solve_tri_f32_fastILi64ELi6EEvPKfS1_Pf15HIP_vector_typeIjLj3EEmmmmmmii: ; @_ZL18solve_tri_f32_fastILi64ELi6EEvPKfS1_Pf15HIP_vector_typeIjLj3EEmmmmmmii
; %bb.0:
	v_bfe_u32 v1, v0, 10, 10
	s_mov_b32 s2, exec_lo
	s_delay_alu instid0(VALU_DEP_1)
	v_cmpx_gt_u32_e32 6, v1
	s_cbranch_execz .LBB7_305
; %bb.1:
	s_clause 0x2
	s_load_b96 s[12:14], s[0:1], 0x18
	s_load_b32 s15, s[0:1], 0x6c
	s_load_b256 s[4:11], s[0:1], 0x28
	s_bfe_u32 s16, ttmp6, 0x4000c
	s_and_b32 s17, ttmp6, 15
	s_add_co_i32 s16, s16, 1
	s_load_b64 s[2:3], s[0:1], 0x0
	s_mul_i32 s16, ttmp9, s16
	s_getreg_b32 s18, hwreg(HW_REG_IB_STS2, 6, 4)
	s_add_co_i32 s17, s17, s16
	s_cmp_eq_u32 s18, 0
	v_and_b32_e32 v10, 0x3ff, v0
	s_cselect_b32 s16, ttmp9, s17
	s_mov_b32 s73, 0
	s_delay_alu instid0(SALU_CYCLE_1)
	s_mov_b32 s75, s73
	s_wait_kmcnt 0x0
	s_mul_hi_u32 s12, s12, s16
	s_and_b32 s15, s15, 0xffff
	s_add_co_i32 s12, s16, s12
	v_mad_u32_u24 v0, v1, s15, v10
	s_lshr_b32 s74, s12, s13
	s_delay_alu instid0(SALU_CYCLE_1) | instskip(SKIP_4) | instid1(SALU_CYCLE_1)
	s_mul_i32 s12, s74, s14
	s_mul_u64 s[6:7], s[6:7], s[74:75]
	s_sub_co_i32 s72, s16, s12
	v_lshlrev_b32_e32 v2, 2, v0
	s_mul_u64 s[4:5], s[4:5], s[72:73]
	s_lshl_b64 s[4:5], s[4:5], 2
	s_delay_alu instid0(SALU_CYCLE_1) | instskip(SKIP_1) | instid1(SALU_CYCLE_1)
	s_add_nc_u64 s[2:3], s[2:3], s[4:5]
	s_lshl_b64 s[4:5], s[6:7], 2
	s_add_nc_u64 s[2:3], s[2:3], s[4:5]
	s_mov_b32 s4, exec_lo
	v_cmpx_gt_u32_e32 0x1000, v0
	s_cbranch_execz .LBB7_3
; %bb.2:
	global_load_b32 v3, v0, s[2:3] scale_offset
	s_wait_loadcnt 0x0
	ds_store_b32 v2, v3
.LBB7_3:
	s_or_b32 exec_lo, exec_lo, s4
	s_delay_alu instid0(SALU_CYCLE_1)
	s_mov_b32 s4, exec_lo
	v_cmpx_gt_u32_e32 0xf40, v0
	s_cbranch_execz .LBB7_5
; %bb.4:
	global_load_b32 v3, v0, s[2:3] offset:768 scale_offset
	s_wait_loadcnt 0x0
	ds_store_b32 v2, v3 offset:768
.LBB7_5:
	s_or_b32 exec_lo, exec_lo, s4
	s_delay_alu instid0(SALU_CYCLE_1)
	s_mov_b32 s4, exec_lo
	v_cmpx_gt_u32_e32 0xe80, v0
	s_cbranch_execz .LBB7_7
; %bb.6:
	global_load_b32 v3, v0, s[2:3] offset:1536 scale_offset
	s_wait_loadcnt 0x0
	ds_store_b32 v2, v3 offset:1536
.LBB7_7:
	;; [unrolled: 10-line block ×18, first 2 shown]
	s_or_b32 exec_lo, exec_lo, s4
	s_load_b128 s[68:71], s[0:1], 0x48
	s_mov_b32 s4, exec_lo
	v_cmpx_gt_u32_e32 0x1c0, v0
	s_cbranch_execz .LBB7_41
; %bb.40:
	global_load_b32 v3, v0, s[2:3] offset:14592 scale_offset
	s_wait_loadcnt 0x0
	ds_store_b32 v2, v3 offset:14592
.LBB7_41:
	s_or_b32 exec_lo, exec_lo, s4
	s_delay_alu instid0(SALU_CYCLE_1)
	s_mov_b32 s4, exec_lo
	v_cmpx_gt_u32_e32 0x100, v0
	s_cbranch_execz .LBB7_43
; %bb.42:
	global_load_b32 v3, v0, s[2:3] offset:15360 scale_offset
	s_wait_loadcnt 0x0
	ds_store_b32 v2, v3 offset:15360
.LBB7_43:
	s_or_b32 exec_lo, exec_lo, s4
	s_load_b64 s[4:5], s[0:1], 0x8
	s_mov_b32 s6, exec_lo
	v_cmpx_gt_u32_e32 64, v0
	s_cbranch_execz .LBB7_45
; %bb.44:
	global_load_b32 v0, v0, s[2:3] offset:16128 scale_offset
	s_wait_loadcnt 0x0
	ds_store_b32 v2, v0 offset:16128
.LBB7_45:
	s_or_b32 exec_lo, exec_lo, s6
	s_mul_u64 s[2:3], s[8:9], s[72:73]
	s_mul_u64 s[6:7], s[10:11], s[74:75]
	s_lshl_b64 s[2:3], s[2:3], 2
	v_dual_mov_b32 v9, 0 :: v_dual_mov_b32 v8, 0
	s_wait_kmcnt 0x0
	s_add_nc_u64 s[4:5], s[4:5], s[2:3]
	v_cmp_gt_u32_e64 s2, 64, v10
	v_mad_u32_u24 v0, v10, 6, v1
	s_lshl_b64 s[6:7], s[6:7], 2
	s_wait_dscnt 0x0
	s_add_nc_u64 s[4:5], s[4:5], s[6:7]
	s_barrier_signal -1
	s_barrier_wait -1
	s_and_saveexec_b32 s3, s2
	s_cbranch_execz .LBB7_47
; %bb.46:
	global_load_b32 v8, v0, s[4:5] scale_offset
.LBB7_47:
	s_wait_xcnt 0x0
	s_or_b32 exec_lo, exec_lo, s3
	v_add_nc_u32_e32 v2, 32, v10
	v_cmp_gt_u32_e64 s3, 32, v10
	s_delay_alu instid0(VALU_DEP_2)
	v_mad_u32_u24 v1, v2, 6, v1
	s_and_saveexec_b32 s6, s3
	s_cbranch_execz .LBB7_49
; %bb.48:
	global_load_b32 v9, v1, s[4:5] scale_offset
.LBB7_49:
	s_wait_xcnt 0x0
	s_or_b32 exec_lo, exec_lo, s6
	v_cmp_eq_u32_e64 s4, 0, v10
	s_and_saveexec_b32 s5, s4
	s_cbranch_execz .LBB7_51
; %bb.50:
	v_mov_b32_e32 v2, 0
	ds_load_b32 v2, v2
	s_wait_loadcnt_dscnt 0x0
	v_div_scale_f32 v3, null, v2, v2, v8
	s_delay_alu instid0(VALU_DEP_1) | instskip(SKIP_1) | instid1(TRANS32_DEP_1)
	v_rcp_f32_e32 v4, v3
	v_nop
	v_fma_f32 v5, -v3, v4, 1.0
	s_delay_alu instid0(VALU_DEP_1) | instskip(SKIP_1) | instid1(VALU_DEP_1)
	v_fmac_f32_e32 v4, v5, v4
	v_div_scale_f32 v5, vcc_lo, v8, v2, v8
	v_mul_f32_e32 v6, v5, v4
	s_delay_alu instid0(VALU_DEP_1) | instskip(NEXT) | instid1(VALU_DEP_1)
	v_fma_f32 v7, -v3, v6, v5
	v_fmac_f32_e32 v6, v7, v4
	s_delay_alu instid0(VALU_DEP_1) | instskip(NEXT) | instid1(VALU_DEP_1)
	v_fma_f32 v3, -v3, v6, v5
	v_div_fmas_f32 v3, v3, v4, v6
	s_delay_alu instid0(VALU_DEP_1)
	v_div_fixup_f32 v8, v3, v2, v8
.LBB7_51:
	s_or_b32 exec_lo, exec_lo, s5
	v_dual_mov_b32 v5, 0 :: v_dual_lshlrev_b32 v2, 2, v10
	s_and_saveexec_b32 s5, s4
	s_cbranch_execz .LBB7_53
; %bb.52:
	ds_load_b32 v3, v2 offset:256
	s_wait_loadcnt_dscnt 0x0
	v_fma_f32 v5, v8, v3, 0
.LBB7_53:
	s_or_b32 exec_lo, exec_lo, s5
	v_mbcnt_lo_u32_b32 v7, -1, 0
	v_cmp_eq_u32_e64 s37, 1, v10
	s_delay_alu instid0(VALU_DEP_2) | instskip(SKIP_2) | instid1(VALU_DEP_2)
	v_xor_b32_e32 v4, 8, v7
	v_xor_b32_e32 v3, 16, v7
	;; [unrolled: 1-line block ×3, first 2 shown]
	v_cmp_gt_i32_e32 vcc_lo, 32, v3
	v_cndmask_b32_e32 v3, v7, v3, vcc_lo
	v_cmp_gt_i32_e32 vcc_lo, 32, v4
	v_cndmask_b32_e32 v4, v7, v4, vcc_lo
	s_delay_alu instid0(VALU_DEP_1)
	v_dual_lshlrev_b32 v4, 2, v4 :: v_dual_lshlrev_b32 v3, 2, v3
	ds_bpermute_b32 v6, v3, v5
	s_wait_dscnt 0x0
	v_add_f32_e32 v6, v5, v6
	ds_bpermute_b32 v11, v4, v6
	s_wait_dscnt 0x0
	v_add_f32_e32 v11, v6, v11
	v_xor_b32_e32 v6, 2, v7
	v_xor_b32_e32 v5, 4, v7
	s_delay_alu instid0(VALU_DEP_1) | instskip(SKIP_1) | instid1(VALU_DEP_4)
	v_cmp_gt_i32_e32 vcc_lo, 32, v5
	v_cndmask_b32_e32 v5, v7, v5, vcc_lo
	v_cmp_gt_i32_e32 vcc_lo, 32, v6
	s_delay_alu instid0(VALU_DEP_2) | instskip(SKIP_1) | instid1(VALU_DEP_2)
	v_dual_cndmask_b32 v6, v7, v6 :: v_dual_lshlrev_b32 v5, 2, v5
	v_cmp_gt_i32_e32 vcc_lo, 32, v13
	v_dual_cndmask_b32 v7, v7, v13 :: v_dual_lshlrev_b32 v6, 2, v6
	ds_bpermute_b32 v12, v5, v11
	s_wait_dscnt 0x0
	v_dual_lshlrev_b32 v7, 2, v7 :: v_dual_add_f32 v11, v11, v12
	ds_bpermute_b32 v12, v6, v11
	s_wait_dscnt 0x0
	v_add_f32_e32 v11, v11, v12
	ds_bpermute_b32 v12, v7, v11
	s_and_saveexec_b32 s5, s37
	s_cbranch_execz .LBB7_55
; %bb.54:
	s_wait_dscnt 0x0
	v_dual_mov_b32 v13, 0 :: v_dual_add_f32 v11, v11, v12
	ds_load_b32 v13, v13 offset:260
	s_wait_loadcnt 0x0
	v_sub_f32_e32 v8, v8, v11
	s_wait_dscnt 0x0
	s_delay_alu instid0(VALU_DEP_1) | instskip(NEXT) | instid1(VALU_DEP_1)
	v_div_scale_f32 v11, null, v13, v13, v8
	v_rcp_f32_e32 v12, v11
	v_nop
	s_delay_alu instid0(TRANS32_DEP_1) | instskip(NEXT) | instid1(VALU_DEP_1)
	v_fma_f32 v14, -v11, v12, 1.0
	v_fmac_f32_e32 v12, v14, v12
	v_div_scale_f32 v14, vcc_lo, v8, v13, v8
	s_delay_alu instid0(VALU_DEP_1) | instskip(NEXT) | instid1(VALU_DEP_1)
	v_mul_f32_e32 v15, v14, v12
	v_fma_f32 v16, -v11, v15, v14
	s_delay_alu instid0(VALU_DEP_1) | instskip(NEXT) | instid1(VALU_DEP_1)
	v_fmac_f32_e32 v15, v16, v12
	v_fma_f32 v11, -v11, v15, v14
	s_delay_alu instid0(VALU_DEP_1) | instskip(NEXT) | instid1(VALU_DEP_1)
	v_div_fmas_f32 v11, v11, v12, v15
	v_div_fixup_f32 v8, v11, v13, v8
.LBB7_55:
	s_or_b32 exec_lo, exec_lo, s5
	v_cmp_gt_u32_e64 s6, 2, v10
	v_mov_b32_e32 v11, 0
	s_and_saveexec_b32 s5, s6
	s_cbranch_execz .LBB7_57
; %bb.56:
	ds_load_b32 v11, v2 offset:512
	s_wait_loadcnt_dscnt 0x0
	v_fma_f32 v11, v8, v11, 0
.LBB7_57:
	s_or_b32 exec_lo, exec_lo, s5
	s_wait_dscnt 0x0
	ds_bpermute_b32 v12, v3, v11
	v_cmp_eq_u32_e64 s38, 2, v10
	s_wait_dscnt 0x0
	v_add_f32_e32 v11, v11, v12
	ds_bpermute_b32 v12, v4, v11
	s_wait_dscnt 0x0
	v_add_f32_e32 v11, v11, v12
	ds_bpermute_b32 v12, v5, v11
	s_wait_dscnt 0x0
	v_add_f32_e32 v11, v11, v12
	ds_bpermute_b32 v12, v6, v11
	s_wait_dscnt 0x0
	v_add_f32_e32 v11, v11, v12
	ds_bpermute_b32 v12, v7, v11
	s_and_saveexec_b32 s5, s38
	s_cbranch_execz .LBB7_59
; %bb.58:
	s_wait_dscnt 0x0
	v_dual_mov_b32 v13, 0 :: v_dual_add_f32 v11, v11, v12
	ds_load_b32 v13, v13 offset:520
	s_wait_loadcnt 0x0
	v_sub_f32_e32 v8, v8, v11
	s_wait_dscnt 0x0
	s_delay_alu instid0(VALU_DEP_1) | instskip(NEXT) | instid1(VALU_DEP_1)
	v_div_scale_f32 v11, null, v13, v13, v8
	v_rcp_f32_e32 v12, v11
	v_nop
	s_delay_alu instid0(TRANS32_DEP_1) | instskip(NEXT) | instid1(VALU_DEP_1)
	v_fma_f32 v14, -v11, v12, 1.0
	v_fmac_f32_e32 v12, v14, v12
	v_div_scale_f32 v14, vcc_lo, v8, v13, v8
	s_delay_alu instid0(VALU_DEP_1) | instskip(NEXT) | instid1(VALU_DEP_1)
	v_mul_f32_e32 v15, v14, v12
	v_fma_f32 v16, -v11, v15, v14
	s_delay_alu instid0(VALU_DEP_1) | instskip(NEXT) | instid1(VALU_DEP_1)
	v_fmac_f32_e32 v15, v16, v12
	v_fma_f32 v11, -v11, v15, v14
	s_delay_alu instid0(VALU_DEP_1) | instskip(NEXT) | instid1(VALU_DEP_1)
	v_div_fmas_f32 v11, v11, v12, v15
	v_div_fixup_f32 v8, v11, v13, v8
.LBB7_59:
	s_or_b32 exec_lo, exec_lo, s5
	v_cmp_gt_u32_e64 s7, 3, v10
	v_mov_b32_e32 v11, 0
	s_and_saveexec_b32 s5, s7
	s_cbranch_execz .LBB7_61
; %bb.60:
	ds_load_b32 v11, v2 offset:768
	s_wait_loadcnt_dscnt 0x0
	v_fma_f32 v11, v8, v11, 0
.LBB7_61:
	s_or_b32 exec_lo, exec_lo, s5
	s_wait_dscnt 0x0
	ds_bpermute_b32 v12, v3, v11
	v_cmp_eq_u32_e64 s39, 3, v10
	s_wait_dscnt 0x0
	v_add_f32_e32 v11, v11, v12
	ds_bpermute_b32 v12, v4, v11
	s_wait_dscnt 0x0
	v_add_f32_e32 v11, v11, v12
	ds_bpermute_b32 v12, v5, v11
	s_wait_dscnt 0x0
	v_add_f32_e32 v11, v11, v12
	;; [unrolled: 53-line block ×30, first 2 shown]
	ds_bpermute_b32 v12, v6, v11
	s_wait_dscnt 0x0
	v_add_f32_e32 v11, v11, v12
	ds_bpermute_b32 v12, v7, v11
	s_and_saveexec_b32 s67, s5
	s_cbranch_execz .LBB7_175
; %bb.174:
	s_wait_dscnt 0x0
	v_dual_mov_b32 v10, 0 :: v_dual_add_f32 v11, v11, v12
	ds_load_b32 v10, v10 offset:8060
	s_wait_loadcnt 0x0
	v_sub_f32_e32 v8, v8, v11
	s_wait_dscnt 0x0
	s_delay_alu instid0(VALU_DEP_1) | instskip(NEXT) | instid1(VALU_DEP_1)
	v_div_scale_f32 v11, null, v10, v10, v8
	v_rcp_f32_e32 v12, v11
	v_nop
	s_delay_alu instid0(TRANS32_DEP_1) | instskip(NEXT) | instid1(VALU_DEP_1)
	v_fma_f32 v13, -v11, v12, 1.0
	v_fmac_f32_e32 v12, v13, v12
	v_div_scale_f32 v13, vcc_lo, v8, v10, v8
	s_delay_alu instid0(VALU_DEP_1) | instskip(NEXT) | instid1(VALU_DEP_1)
	v_mul_f32_e32 v14, v13, v12
	v_fma_f32 v15, -v11, v14, v13
	s_delay_alu instid0(VALU_DEP_1) | instskip(NEXT) | instid1(VALU_DEP_1)
	v_fmac_f32_e32 v14, v15, v12
	v_fma_f32 v11, -v11, v14, v13
	s_delay_alu instid0(VALU_DEP_1) | instskip(NEXT) | instid1(VALU_DEP_1)
	v_div_fmas_f32 v11, v11, v12, v14
	v_div_fixup_f32 v8, v11, v10, v8
.LBB7_175:
	s_or_b32 exec_lo, exec_lo, s67
	ds_load_b32 v10, v2 offset:8192
	s_wait_loadcnt_dscnt 0x0
	v_mul_f32_e32 v11, v8, v10
	ds_bpermute_b32 v11, v3, v11
	s_wait_dscnt 0x0
	v_fmac_f32_e32 v11, v8, v10
	ds_bpermute_b32 v10, v4, v11
	s_wait_dscnt 0x0
	v_add_f32_e32 v10, v11, v10
	ds_bpermute_b32 v11, v5, v10
	s_wait_dscnt 0x0
	v_add_f32_e32 v10, v10, v11
	ds_bpermute_b32 v11, v6, v10
	s_wait_dscnt 0x0
	v_add_f32_e32 v10, v10, v11
	ds_bpermute_b32 v11, v7, v10
	s_and_saveexec_b32 s67, s4
	s_cbranch_execz .LBB7_177
; %bb.176:
	s_wait_dscnt 0x0
	v_dual_mov_b32 v12, 0 :: v_dual_add_f32 v10, v10, v11
	ds_load_b32 v12, v12 offset:8320
	v_sub_f32_e32 v9, v9, v10
	s_wait_dscnt 0x0
	s_delay_alu instid0(VALU_DEP_1) | instskip(NEXT) | instid1(VALU_DEP_1)
	v_div_scale_f32 v10, null, v12, v12, v9
	v_rcp_f32_e32 v11, v10
	v_nop
	s_delay_alu instid0(TRANS32_DEP_1) | instskip(NEXT) | instid1(VALU_DEP_1)
	v_fma_f32 v13, -v10, v11, 1.0
	v_fmac_f32_e32 v11, v13, v11
	v_div_scale_f32 v13, vcc_lo, v9, v12, v9
	s_delay_alu instid0(VALU_DEP_1) | instskip(NEXT) | instid1(VALU_DEP_1)
	v_mul_f32_e32 v14, v13, v11
	v_fma_f32 v15, -v10, v14, v13
	s_delay_alu instid0(VALU_DEP_1) | instskip(NEXT) | instid1(VALU_DEP_1)
	v_fmac_f32_e32 v14, v15, v11
	v_fma_f32 v10, -v10, v14, v13
	s_delay_alu instid0(VALU_DEP_1) | instskip(NEXT) | instid1(VALU_DEP_1)
	v_div_fmas_f32 v10, v10, v11, v14
	v_div_fixup_f32 v9, v10, v12, v9
.LBB7_177:
	s_or_b32 exec_lo, exec_lo, s67
	ds_load_b32 v10, v2 offset:8448
	s_wait_dscnt 0x0
	v_mul_f32_e32 v10, v8, v10
	s_and_saveexec_b32 s67, s4
	s_cbranch_execz .LBB7_179
; %bb.178:
	ds_load_b32 v11, v2 offset:8576
	s_wait_dscnt 0x0
	v_fmac_f32_e32 v10, v9, v11
.LBB7_179:
	s_or_b32 exec_lo, exec_lo, s67
	ds_bpermute_b32 v11, v3, v10
	s_wait_dscnt 0x0
	v_add_f32_e32 v10, v10, v11
	ds_bpermute_b32 v11, v4, v10
	s_wait_dscnt 0x0
	v_add_f32_e32 v10, v10, v11
	ds_bpermute_b32 v11, v5, v10
	s_wait_dscnt 0x0
	v_add_f32_e32 v10, v10, v11
	ds_bpermute_b32 v11, v6, v10
	s_wait_dscnt 0x0
	v_add_f32_e32 v10, v10, v11
	ds_bpermute_b32 v11, v7, v10
	s_and_saveexec_b32 s4, s37
	s_cbranch_execz .LBB7_181
; %bb.180:
	s_wait_dscnt 0x0
	v_dual_mov_b32 v12, 0 :: v_dual_add_f32 v10, v10, v11
	ds_load_b32 v12, v12 offset:8580
	v_sub_f32_e32 v9, v9, v10
	s_wait_dscnt 0x0
	s_delay_alu instid0(VALU_DEP_1) | instskip(NEXT) | instid1(VALU_DEP_1)
	v_div_scale_f32 v10, null, v12, v12, v9
	v_rcp_f32_e32 v11, v10
	v_nop
	s_delay_alu instid0(TRANS32_DEP_1) | instskip(NEXT) | instid1(VALU_DEP_1)
	v_fma_f32 v13, -v10, v11, 1.0
	v_fmac_f32_e32 v11, v13, v11
	v_div_scale_f32 v13, vcc_lo, v9, v12, v9
	s_delay_alu instid0(VALU_DEP_1) | instskip(NEXT) | instid1(VALU_DEP_1)
	v_mul_f32_e32 v14, v13, v11
	v_fma_f32 v15, -v10, v14, v13
	s_delay_alu instid0(VALU_DEP_1) | instskip(NEXT) | instid1(VALU_DEP_1)
	v_fmac_f32_e32 v14, v15, v11
	v_fma_f32 v10, -v10, v14, v13
	s_delay_alu instid0(VALU_DEP_1) | instskip(NEXT) | instid1(VALU_DEP_1)
	v_div_fmas_f32 v10, v10, v11, v14
	v_div_fixup_f32 v9, v10, v12, v9
.LBB7_181:
	s_or_b32 exec_lo, exec_lo, s4
	ds_load_b32 v10, v2 offset:8704
	s_wait_dscnt 0x0
	v_mul_f32_e32 v10, v8, v10
	s_and_saveexec_b32 s4, s6
	s_cbranch_execz .LBB7_183
; %bb.182:
	ds_load_b32 v11, v2 offset:8832
	s_wait_dscnt 0x0
	v_fmac_f32_e32 v10, v9, v11
.LBB7_183:
	s_or_b32 exec_lo, exec_lo, s4
	ds_bpermute_b32 v11, v3, v10
	s_wait_dscnt 0x0
	v_add_f32_e32 v10, v10, v11
	;; [unrolled: 51-line block ×30, first 2 shown]
	ds_bpermute_b32 v11, v4, v10
	s_wait_dscnt 0x0
	v_add_f32_e32 v10, v10, v11
	ds_bpermute_b32 v11, v5, v10
	s_wait_dscnt 0x0
	v_add_f32_e32 v10, v10, v11
	;; [unrolled: 3-line block ×3, first 2 shown]
	ds_bpermute_b32 v11, v7, v10
	s_and_saveexec_b32 s4, s66
	s_cbranch_execz .LBB7_297
; %bb.296:
	s_wait_dscnt 0x0
	v_dual_mov_b32 v12, 0 :: v_dual_add_f32 v10, v10, v11
	ds_load_b32 v12, v12 offset:16120
	v_sub_f32_e32 v9, v9, v10
	s_wait_dscnt 0x0
	s_delay_alu instid0(VALU_DEP_1) | instskip(NEXT) | instid1(VALU_DEP_1)
	v_div_scale_f32 v10, null, v12, v12, v9
	v_rcp_f32_e32 v11, v10
	v_nop
	s_delay_alu instid0(TRANS32_DEP_1) | instskip(NEXT) | instid1(VALU_DEP_1)
	v_fma_f32 v13, -v10, v11, 1.0
	v_fmac_f32_e32 v11, v13, v11
	v_div_scale_f32 v13, vcc_lo, v9, v12, v9
	s_delay_alu instid0(VALU_DEP_1) | instskip(NEXT) | instid1(VALU_DEP_1)
	v_mul_f32_e32 v14, v13, v11
	v_fma_f32 v15, -v10, v14, v13
	s_delay_alu instid0(VALU_DEP_1) | instskip(NEXT) | instid1(VALU_DEP_1)
	v_fmac_f32_e32 v14, v15, v11
	v_fma_f32 v10, -v10, v14, v13
	s_delay_alu instid0(VALU_DEP_1) | instskip(NEXT) | instid1(VALU_DEP_1)
	v_div_fmas_f32 v10, v10, v11, v14
	v_div_fixup_f32 v9, v10, v12, v9
.LBB7_297:
	s_or_b32 exec_lo, exec_lo, s4
	ds_load_b32 v10, v2 offset:16128
	s_wait_dscnt 0x0
	v_mul_f32_e32 v10, v8, v10
	s_and_saveexec_b32 s4, s36
	s_cbranch_execz .LBB7_299
; %bb.298:
	ds_load_b32 v2, v2 offset:16256
	s_wait_dscnt 0x0
	v_fmac_f32_e32 v10, v9, v2
.LBB7_299:
	s_or_b32 exec_lo, exec_lo, s4
	ds_bpermute_b32 v2, v3, v10
	s_load_b64 s[0:1], s[0:1], 0x10
	s_wait_dscnt 0x0
	v_add_f32_e32 v2, v10, v2
	ds_bpermute_b32 v3, v4, v2
	s_wait_dscnt 0x0
	v_add_f32_e32 v2, v2, v3
	ds_bpermute_b32 v3, v5, v2
	;; [unrolled: 3-line block ×4, first 2 shown]
	s_and_saveexec_b32 s4, s5
	s_cbranch_execz .LBB7_301
; %bb.300:
	s_wait_dscnt 0x0
	v_dual_mov_b32 v4, 0 :: v_dual_add_f32 v2, v2, v3
	ds_load_b32 v4, v4 offset:16380
	v_sub_f32_e32 v2, v9, v2
	s_wait_dscnt 0x0
	s_delay_alu instid0(VALU_DEP_1) | instskip(NEXT) | instid1(VALU_DEP_1)
	v_div_scale_f32 v3, null, v4, v4, v2
	v_rcp_f32_e32 v5, v3
	v_nop
	s_delay_alu instid0(TRANS32_DEP_1) | instskip(NEXT) | instid1(VALU_DEP_1)
	v_fma_f32 v6, -v3, v5, 1.0
	v_fmac_f32_e32 v5, v6, v5
	v_div_scale_f32 v6, vcc_lo, v2, v4, v2
	s_delay_alu instid0(VALU_DEP_1) | instskip(NEXT) | instid1(VALU_DEP_1)
	v_mul_f32_e32 v7, v6, v5
	v_fma_f32 v9, -v3, v7, v6
	s_delay_alu instid0(VALU_DEP_1) | instskip(NEXT) | instid1(VALU_DEP_1)
	v_fmac_f32_e32 v7, v9, v5
	v_fma_f32 v3, -v3, v7, v6
	s_delay_alu instid0(VALU_DEP_1) | instskip(NEXT) | instid1(VALU_DEP_1)
	v_div_fmas_f32 v3, v3, v5, v7
	v_div_fixup_f32 v9, v3, v4, v2
.LBB7_301:
	s_or_b32 exec_lo, exec_lo, s4
	s_mul_u64 s[4:5], s[68:69], s[72:73]
	s_mul_u64 s[6:7], s[70:71], s[74:75]
	s_lshl_b64 s[4:5], s[4:5], 2
	s_wait_kmcnt 0x0
	s_add_nc_u64 s[0:1], s[0:1], s[4:5]
	s_lshl_b64 s[4:5], s[6:7], 2
	s_delay_alu instid0(SALU_CYCLE_1)
	s_add_nc_u64 s[0:1], s[0:1], s[4:5]
	s_and_saveexec_b32 s4, s2
	s_cbranch_execz .LBB7_303
; %bb.302:
	v_cndmask_b32_e64 v2, v9, v8, s3
	global_store_b32 v0, v2, s[0:1] scale_offset
.LBB7_303:
	s_wait_xcnt 0x0
	s_or_b32 exec_lo, exec_lo, s4
	s_delay_alu instid0(SALU_CYCLE_1)
	s_and_b32 exec_lo, exec_lo, s3
	s_cbranch_execz .LBB7_305
; %bb.304:
	global_store_b32 v1, v9, s[0:1] scale_offset
.LBB7_305:
	s_endpgm
	.section	.rodata,"a",@progbits
	.p2align	6, 0x0
	.amdhsa_kernel _ZL18solve_tri_f32_fastILi64ELi6EEvPKfS1_Pf15HIP_vector_typeIjLj3EEmmmmmmii
		.amdhsa_group_segment_fixed_size 16384
		.amdhsa_private_segment_fixed_size 0
		.amdhsa_kernarg_size 352
		.amdhsa_user_sgpr_count 2
		.amdhsa_user_sgpr_dispatch_ptr 0
		.amdhsa_user_sgpr_queue_ptr 0
		.amdhsa_user_sgpr_kernarg_segment_ptr 1
		.amdhsa_user_sgpr_dispatch_id 0
		.amdhsa_user_sgpr_kernarg_preload_length 0
		.amdhsa_user_sgpr_kernarg_preload_offset 0
		.amdhsa_user_sgpr_private_segment_size 0
		.amdhsa_wavefront_size32 1
		.amdhsa_uses_dynamic_stack 0
		.amdhsa_enable_private_segment 0
		.amdhsa_system_sgpr_workgroup_id_x 1
		.amdhsa_system_sgpr_workgroup_id_y 0
		.amdhsa_system_sgpr_workgroup_id_z 0
		.amdhsa_system_sgpr_workgroup_info 0
		.amdhsa_system_vgpr_workitem_id 1
		.amdhsa_next_free_vgpr 17
		.amdhsa_next_free_sgpr 76
		.amdhsa_named_barrier_count 0
		.amdhsa_reserve_vcc 1
		.amdhsa_float_round_mode_32 0
		.amdhsa_float_round_mode_16_64 0
		.amdhsa_float_denorm_mode_32 3
		.amdhsa_float_denorm_mode_16_64 3
		.amdhsa_fp16_overflow 0
		.amdhsa_memory_ordered 1
		.amdhsa_forward_progress 1
		.amdhsa_inst_pref_size 144
		.amdhsa_round_robin_scheduling 0
		.amdhsa_exception_fp_ieee_invalid_op 0
		.amdhsa_exception_fp_denorm_src 0
		.amdhsa_exception_fp_ieee_div_zero 0
		.amdhsa_exception_fp_ieee_overflow 0
		.amdhsa_exception_fp_ieee_underflow 0
		.amdhsa_exception_fp_ieee_inexact 0
		.amdhsa_exception_int_div_zero 0
	.end_amdhsa_kernel
	.section	.text._ZL18solve_tri_f32_fastILi64ELi6EEvPKfS1_Pf15HIP_vector_typeIjLj3EEmmmmmmii,"axG",@progbits,_ZL18solve_tri_f32_fastILi64ELi6EEvPKfS1_Pf15HIP_vector_typeIjLj3EEmmmmmmii,comdat
.Lfunc_end7:
	.size	_ZL18solve_tri_f32_fastILi64ELi6EEvPKfS1_Pf15HIP_vector_typeIjLj3EEmmmmmmii, .Lfunc_end7-_ZL18solve_tri_f32_fastILi64ELi6EEvPKfS1_Pf15HIP_vector_typeIjLj3EEmmmmmmii
                                        ; -- End function
	.set _ZL18solve_tri_f32_fastILi64ELi6EEvPKfS1_Pf15HIP_vector_typeIjLj3EEmmmmmmii.num_vgpr, 17
	.set _ZL18solve_tri_f32_fastILi64ELi6EEvPKfS1_Pf15HIP_vector_typeIjLj3EEmmmmmmii.num_agpr, 0
	.set _ZL18solve_tri_f32_fastILi64ELi6EEvPKfS1_Pf15HIP_vector_typeIjLj3EEmmmmmmii.numbered_sgpr, 76
	.set _ZL18solve_tri_f32_fastILi64ELi6EEvPKfS1_Pf15HIP_vector_typeIjLj3EEmmmmmmii.num_named_barrier, 0
	.set _ZL18solve_tri_f32_fastILi64ELi6EEvPKfS1_Pf15HIP_vector_typeIjLj3EEmmmmmmii.private_seg_size, 0
	.set _ZL18solve_tri_f32_fastILi64ELi6EEvPKfS1_Pf15HIP_vector_typeIjLj3EEmmmmmmii.uses_vcc, 1
	.set _ZL18solve_tri_f32_fastILi64ELi6EEvPKfS1_Pf15HIP_vector_typeIjLj3EEmmmmmmii.uses_flat_scratch, 0
	.set _ZL18solve_tri_f32_fastILi64ELi6EEvPKfS1_Pf15HIP_vector_typeIjLj3EEmmmmmmii.has_dyn_sized_stack, 0
	.set _ZL18solve_tri_f32_fastILi64ELi6EEvPKfS1_Pf15HIP_vector_typeIjLj3EEmmmmmmii.has_recursion, 0
	.set _ZL18solve_tri_f32_fastILi64ELi6EEvPKfS1_Pf15HIP_vector_typeIjLj3EEmmmmmmii.has_indirect_call, 0
	.section	.AMDGPU.csdata,"",@progbits
; Kernel info:
; codeLenInByte = 18324
; TotalNumSgprs: 78
; NumVgprs: 17
; ScratchSize: 0
; MemoryBound: 0
; FloatMode: 240
; IeeeMode: 1
; LDSByteSize: 16384 bytes/workgroup (compile time only)
; SGPRBlocks: 0
; VGPRBlocks: 1
; NumSGPRsForWavesPerEU: 78
; NumVGPRsForWavesPerEU: 17
; NamedBarCnt: 0
; Occupancy: 16
; WaveLimiterHint : 0
; COMPUTE_PGM_RSRC2:SCRATCH_EN: 0
; COMPUTE_PGM_RSRC2:USER_SGPR: 2
; COMPUTE_PGM_RSRC2:TRAP_HANDLER: 0
; COMPUTE_PGM_RSRC2:TGID_X_EN: 1
; COMPUTE_PGM_RSRC2:TGID_Y_EN: 0
; COMPUTE_PGM_RSRC2:TGID_Z_EN: 0
; COMPUTE_PGM_RSRC2:TIDIG_COMP_CNT: 1
	.section	.text._ZL18solve_tri_f32_fastILi64ELi4EEvPKfS1_Pf15HIP_vector_typeIjLj3EEmmmmmmii,"axG",@progbits,_ZL18solve_tri_f32_fastILi64ELi4EEvPKfS1_Pf15HIP_vector_typeIjLj3EEmmmmmmii,comdat
	.globl	_ZL18solve_tri_f32_fastILi64ELi4EEvPKfS1_Pf15HIP_vector_typeIjLj3EEmmmmmmii ; -- Begin function _ZL18solve_tri_f32_fastILi64ELi4EEvPKfS1_Pf15HIP_vector_typeIjLj3EEmmmmmmii
	.p2align	8
	.type	_ZL18solve_tri_f32_fastILi64ELi4EEvPKfS1_Pf15HIP_vector_typeIjLj3EEmmmmmmii,@function
_ZL18solve_tri_f32_fastILi64ELi4EEvPKfS1_Pf15HIP_vector_typeIjLj3EEmmmmmmii: ; @_ZL18solve_tri_f32_fastILi64ELi4EEvPKfS1_Pf15HIP_vector_typeIjLj3EEmmmmmmii
; %bb.0:
	v_bfe_u32 v1, v0, 10, 10
	s_mov_b32 s2, exec_lo
	s_delay_alu instid0(VALU_DEP_1)
	v_cmpx_gt_u32_e32 4, v1
	s_cbranch_execz .LBB8_325
; %bb.1:
	s_clause 0x2
	s_load_b96 s[12:14], s[0:1], 0x18
	s_load_b32 s15, s[0:1], 0x6c
	s_load_b256 s[4:11], s[0:1], 0x28
	s_bfe_u32 s16, ttmp6, 0x4000c
	s_and_b32 s17, ttmp6, 15
	s_add_co_i32 s16, s16, 1
	s_load_b64 s[2:3], s[0:1], 0x0
	s_mul_i32 s16, ttmp9, s16
	s_getreg_b32 s18, hwreg(HW_REG_IB_STS2, 6, 4)
	s_add_co_i32 s17, s17, s16
	s_cmp_eq_u32 s18, 0
	v_and_b32_e32 v0, 0x3ff, v0
	s_cselect_b32 s16, ttmp9, s17
	s_mov_b32 s73, 0
	s_delay_alu instid0(SALU_CYCLE_1)
	s_mov_b32 s75, s73
	s_wait_kmcnt 0x0
	s_mul_hi_u32 s12, s12, s16
	s_and_b32 s15, s15, 0xffff
	s_add_co_i32 s12, s16, s12
	v_mad_u32_u24 v2, v1, s15, v0
	s_lshr_b32 s74, s12, s13
	s_delay_alu instid0(SALU_CYCLE_1) | instskip(SKIP_4) | instid1(SALU_CYCLE_1)
	s_mul_i32 s12, s74, s14
	s_mul_u64 s[6:7], s[6:7], s[74:75]
	s_sub_co_i32 s72, s16, s12
	v_lshlrev_b32_e32 v3, 2, v2
	s_mul_u64 s[4:5], s[4:5], s[72:73]
	s_lshl_b64 s[4:5], s[4:5], 2
	s_delay_alu instid0(SALU_CYCLE_1) | instskip(SKIP_1) | instid1(SALU_CYCLE_1)
	s_add_nc_u64 s[2:3], s[2:3], s[4:5]
	s_lshl_b64 s[4:5], s[6:7], 2
	s_add_nc_u64 s[2:3], s[2:3], s[4:5]
	s_mov_b32 s4, exec_lo
	v_cmpx_gt_u32_e32 0x1000, v2
	s_cbranch_execz .LBB8_3
; %bb.2:
	global_load_b32 v4, v2, s[2:3] scale_offset
	s_wait_loadcnt 0x0
	ds_store_b32 v3, v4
.LBB8_3:
	s_or_b32 exec_lo, exec_lo, s4
	s_delay_alu instid0(SALU_CYCLE_1)
	s_mov_b32 s4, exec_lo
	v_cmpx_gt_u32_e32 0xf80, v2
	s_cbranch_execz .LBB8_5
; %bb.4:
	global_load_b32 v4, v2, s[2:3] offset:512 scale_offset
	s_wait_loadcnt 0x0
	ds_store_b32 v3, v4 offset:512
.LBB8_5:
	s_or_b32 exec_lo, exec_lo, s4
	s_delay_alu instid0(SALU_CYCLE_1)
	s_mov_b32 s4, exec_lo
	v_cmpx_gt_u32_e32 0xf00, v2
	s_cbranch_execz .LBB8_7
; %bb.6:
	global_load_b32 v4, v2, s[2:3] offset:1024 scale_offset
	s_wait_loadcnt 0x0
	ds_store_b32 v3, v4 offset:1024
.LBB8_7:
	;; [unrolled: 10-line block ×28, first 2 shown]
	s_or_b32 exec_lo, exec_lo, s4
	s_load_b128 s[68:71], s[0:1], 0x48
	s_mov_b32 s4, exec_lo
	v_cmpx_gt_u32_e32 0x180, v2
	s_cbranch_execz .LBB8_61
; %bb.60:
	global_load_b32 v4, v2, s[2:3] offset:14848 scale_offset
	s_wait_loadcnt 0x0
	ds_store_b32 v3, v4 offset:14848
.LBB8_61:
	s_or_b32 exec_lo, exec_lo, s4
	s_delay_alu instid0(SALU_CYCLE_1)
	s_mov_b32 s4, exec_lo
	v_cmpx_gt_u32_e32 0x100, v2
	s_cbranch_execz .LBB8_63
; %bb.62:
	global_load_b32 v4, v2, s[2:3] offset:15360 scale_offset
	s_wait_loadcnt 0x0
	ds_store_b32 v3, v4 offset:15360
.LBB8_63:
	s_or_b32 exec_lo, exec_lo, s4
	s_load_b64 s[4:5], s[0:1], 0x8
	s_mov_b32 s6, exec_lo
	v_cmpx_gt_u32_e32 0x80, v2
	s_cbranch_execz .LBB8_65
; %bb.64:
	global_load_b32 v2, v2, s[2:3] offset:15872 scale_offset
	s_wait_loadcnt 0x0
	ds_store_b32 v3, v2 offset:15872
.LBB8_65:
	s_or_b32 exec_lo, exec_lo, s6
	s_mul_u64 s[2:3], s[8:9], s[72:73]
	s_mul_u64 s[6:7], s[10:11], s[74:75]
	s_lshl_b64 s[2:3], s[2:3], 2
	v_dual_mov_b32 v10, 0 :: v_dual_lshlrev_b32 v1, 2, v1
	s_wait_kmcnt 0x0
	s_add_nc_u64 s[4:5], s[4:5], s[2:3]
	v_cmp_gt_u32_e64 s2, 64, v0
	v_mov_b32_e32 v9, 0
	s_lshl_b64 s[6:7], s[6:7], 2
	s_wait_dscnt 0x0
	s_add_nc_u64 s[4:5], s[4:5], s[6:7]
	s_barrier_signal -1
	s_barrier_wait -1
	s_and_saveexec_b32 s3, s2
	s_cbranch_execz .LBB8_67
; %bb.66:
	v_lshl_or_b32 v2, v0, 4, v1
	global_load_b32 v9, v2, s[4:5]
.LBB8_67:
	s_wait_xcnt 0x0
	s_or_b32 exec_lo, exec_lo, s3
	v_add_nc_u32_e32 v2, 32, v0
	v_cmp_gt_u32_e64 s3, 32, v0
	s_and_saveexec_b32 s6, s3
	s_cbranch_execz .LBB8_69
; %bb.68:
	v_lshl_or_b32 v3, v2, 4, v1
	global_load_b32 v10, v3, s[4:5]
.LBB8_69:
	s_wait_xcnt 0x0
	s_or_b32 exec_lo, exec_lo, s6
	v_cmp_eq_u32_e64 s4, 0, v0
	s_and_saveexec_b32 s5, s4
	s_cbranch_execz .LBB8_71
; %bb.70:
	v_mov_b32_e32 v3, 0
	ds_load_b32 v3, v3
	s_wait_loadcnt_dscnt 0x0
	v_div_scale_f32 v4, null, v3, v3, v9
	s_delay_alu instid0(VALU_DEP_1) | instskip(SKIP_1) | instid1(TRANS32_DEP_1)
	v_rcp_f32_e32 v5, v4
	v_nop
	v_fma_f32 v6, -v4, v5, 1.0
	s_delay_alu instid0(VALU_DEP_1) | instskip(SKIP_1) | instid1(VALU_DEP_1)
	v_fmac_f32_e32 v5, v6, v5
	v_div_scale_f32 v6, vcc_lo, v9, v3, v9
	v_mul_f32_e32 v7, v6, v5
	s_delay_alu instid0(VALU_DEP_1) | instskip(NEXT) | instid1(VALU_DEP_1)
	v_fma_f32 v8, -v4, v7, v6
	v_fmac_f32_e32 v7, v8, v5
	s_delay_alu instid0(VALU_DEP_1) | instskip(NEXT) | instid1(VALU_DEP_1)
	v_fma_f32 v4, -v4, v7, v6
	v_div_fmas_f32 v4, v4, v5, v7
	s_delay_alu instid0(VALU_DEP_1)
	v_div_fixup_f32 v9, v4, v3, v9
.LBB8_71:
	s_or_b32 exec_lo, exec_lo, s5
	v_dual_mov_b32 v6, 0 :: v_dual_lshlrev_b32 v3, 2, v0
	s_and_saveexec_b32 s5, s4
	s_cbranch_execz .LBB8_73
; %bb.72:
	ds_load_b32 v4, v3 offset:256
	s_wait_loadcnt_dscnt 0x0
	v_fma_f32 v6, v9, v4, 0
.LBB8_73:
	s_or_b32 exec_lo, exec_lo, s5
	v_mbcnt_lo_u32_b32 v8, -1, 0
	v_cmp_eq_u32_e64 s37, 1, v0
	s_delay_alu instid0(VALU_DEP_2) | instskip(SKIP_2) | instid1(VALU_DEP_2)
	v_xor_b32_e32 v5, 8, v8
	v_xor_b32_e32 v4, 16, v8
	;; [unrolled: 1-line block ×3, first 2 shown]
	v_cmp_gt_i32_e32 vcc_lo, 32, v4
	v_cndmask_b32_e32 v4, v8, v4, vcc_lo
	v_cmp_gt_i32_e32 vcc_lo, 32, v5
	v_cndmask_b32_e32 v5, v8, v5, vcc_lo
	s_delay_alu instid0(VALU_DEP_1)
	v_dual_lshlrev_b32 v5, 2, v5 :: v_dual_lshlrev_b32 v4, 2, v4
	ds_bpermute_b32 v7, v4, v6
	s_wait_dscnt 0x0
	v_add_f32_e32 v7, v6, v7
	ds_bpermute_b32 v11, v5, v7
	s_wait_dscnt 0x0
	v_dual_add_f32 v11, v7, v11 :: v_dual_bitop2_b32 v6, 4, v8 bitop3:0x14
	s_delay_alu instid0(VALU_DEP_1) | instskip(SKIP_1) | instid1(VALU_DEP_1)
	v_cmp_gt_i32_e32 vcc_lo, 32, v6
	v_dual_cndmask_b32 v6, v8, v6, vcc_lo :: v_dual_bitop2_b32 v7, 2, v8 bitop3:0x14
	v_cmp_gt_i32_e32 vcc_lo, 32, v7
	s_delay_alu instid0(VALU_DEP_2) | instskip(SKIP_4) | instid1(VALU_DEP_2)
	v_lshlrev_b32_e32 v6, 2, v6
	ds_bpermute_b32 v12, v6, v11
	v_cndmask_b32_e32 v7, v8, v7, vcc_lo
	v_cmp_gt_i32_e32 vcc_lo, 32, v13
	s_wait_dscnt 0x0
	v_dual_add_f32 v11, v11, v12 :: v_dual_lshlrev_b32 v7, 2, v7
	ds_bpermute_b32 v12, v7, v11
	s_wait_dscnt 0x0
	v_dual_cndmask_b32 v8, v8, v13 :: v_dual_add_f32 v11, v11, v12
	s_delay_alu instid0(VALU_DEP_1)
	v_lshlrev_b32_e32 v8, 2, v8
	ds_bpermute_b32 v12, v8, v11
	s_and_saveexec_b32 s5, s37
	s_cbranch_execz .LBB8_75
; %bb.74:
	s_wait_dscnt 0x0
	v_dual_mov_b32 v13, 0 :: v_dual_add_f32 v11, v11, v12
	ds_load_b32 v13, v13 offset:260
	s_wait_loadcnt 0x0
	v_sub_f32_e32 v9, v9, v11
	s_wait_dscnt 0x0
	s_delay_alu instid0(VALU_DEP_1) | instskip(NEXT) | instid1(VALU_DEP_1)
	v_div_scale_f32 v11, null, v13, v13, v9
	v_rcp_f32_e32 v12, v11
	v_nop
	s_delay_alu instid0(TRANS32_DEP_1) | instskip(NEXT) | instid1(VALU_DEP_1)
	v_fma_f32 v14, -v11, v12, 1.0
	v_fmac_f32_e32 v12, v14, v12
	v_div_scale_f32 v14, vcc_lo, v9, v13, v9
	s_delay_alu instid0(VALU_DEP_1) | instskip(NEXT) | instid1(VALU_DEP_1)
	v_mul_f32_e32 v15, v14, v12
	v_fma_f32 v16, -v11, v15, v14
	s_delay_alu instid0(VALU_DEP_1) | instskip(NEXT) | instid1(VALU_DEP_1)
	v_fmac_f32_e32 v15, v16, v12
	v_fma_f32 v11, -v11, v15, v14
	s_delay_alu instid0(VALU_DEP_1) | instskip(NEXT) | instid1(VALU_DEP_1)
	v_div_fmas_f32 v11, v11, v12, v15
	v_div_fixup_f32 v9, v11, v13, v9
.LBB8_75:
	s_or_b32 exec_lo, exec_lo, s5
	v_cmp_gt_u32_e64 s6, 2, v0
	v_mov_b32_e32 v11, 0
	s_and_saveexec_b32 s5, s6
	s_cbranch_execz .LBB8_77
; %bb.76:
	ds_load_b32 v11, v3 offset:512
	s_wait_loadcnt_dscnt 0x0
	v_fma_f32 v11, v9, v11, 0
.LBB8_77:
	s_or_b32 exec_lo, exec_lo, s5
	s_wait_dscnt 0x0
	ds_bpermute_b32 v12, v4, v11
	v_cmp_eq_u32_e64 s38, 2, v0
	s_wait_dscnt 0x0
	v_add_f32_e32 v11, v11, v12
	ds_bpermute_b32 v12, v5, v11
	s_wait_dscnt 0x0
	v_add_f32_e32 v11, v11, v12
	ds_bpermute_b32 v12, v6, v11
	s_wait_dscnt 0x0
	v_add_f32_e32 v11, v11, v12
	ds_bpermute_b32 v12, v7, v11
	s_wait_dscnt 0x0
	v_add_f32_e32 v11, v11, v12
	ds_bpermute_b32 v12, v8, v11
	s_and_saveexec_b32 s5, s38
	s_cbranch_execz .LBB8_79
; %bb.78:
	s_wait_dscnt 0x0
	v_dual_mov_b32 v13, 0 :: v_dual_add_f32 v11, v11, v12
	ds_load_b32 v13, v13 offset:520
	s_wait_loadcnt 0x0
	v_sub_f32_e32 v9, v9, v11
	s_wait_dscnt 0x0
	s_delay_alu instid0(VALU_DEP_1) | instskip(NEXT) | instid1(VALU_DEP_1)
	v_div_scale_f32 v11, null, v13, v13, v9
	v_rcp_f32_e32 v12, v11
	v_nop
	s_delay_alu instid0(TRANS32_DEP_1) | instskip(NEXT) | instid1(VALU_DEP_1)
	v_fma_f32 v14, -v11, v12, 1.0
	v_fmac_f32_e32 v12, v14, v12
	v_div_scale_f32 v14, vcc_lo, v9, v13, v9
	s_delay_alu instid0(VALU_DEP_1) | instskip(NEXT) | instid1(VALU_DEP_1)
	v_mul_f32_e32 v15, v14, v12
	v_fma_f32 v16, -v11, v15, v14
	s_delay_alu instid0(VALU_DEP_1) | instskip(NEXT) | instid1(VALU_DEP_1)
	v_fmac_f32_e32 v15, v16, v12
	v_fma_f32 v11, -v11, v15, v14
	s_delay_alu instid0(VALU_DEP_1) | instskip(NEXT) | instid1(VALU_DEP_1)
	v_div_fmas_f32 v11, v11, v12, v15
	v_div_fixup_f32 v9, v11, v13, v9
.LBB8_79:
	s_or_b32 exec_lo, exec_lo, s5
	v_cmp_gt_u32_e64 s7, 3, v0
	v_mov_b32_e32 v11, 0
	s_and_saveexec_b32 s5, s7
	s_cbranch_execz .LBB8_81
; %bb.80:
	ds_load_b32 v11, v3 offset:768
	s_wait_loadcnt_dscnt 0x0
	v_fma_f32 v11, v9, v11, 0
.LBB8_81:
	s_or_b32 exec_lo, exec_lo, s5
	s_wait_dscnt 0x0
	ds_bpermute_b32 v12, v4, v11
	v_cmp_eq_u32_e64 s39, 3, v0
	s_wait_dscnt 0x0
	v_add_f32_e32 v11, v11, v12
	ds_bpermute_b32 v12, v5, v11
	s_wait_dscnt 0x0
	v_add_f32_e32 v11, v11, v12
	ds_bpermute_b32 v12, v6, v11
	s_wait_dscnt 0x0
	v_add_f32_e32 v11, v11, v12
	ds_bpermute_b32 v12, v7, v11
	s_wait_dscnt 0x0
	v_add_f32_e32 v11, v11, v12
	;; [unrolled: 53-line block ×30, first 2 shown]
	ds_bpermute_b32 v12, v8, v11
	s_and_saveexec_b32 s67, s5
	s_cbranch_execz .LBB8_195
; %bb.194:
	s_wait_dscnt 0x0
	v_dual_mov_b32 v13, 0 :: v_dual_add_f32 v11, v11, v12
	ds_load_b32 v13, v13 offset:8060
	s_wait_loadcnt 0x0
	v_sub_f32_e32 v9, v9, v11
	s_wait_dscnt 0x0
	s_delay_alu instid0(VALU_DEP_1) | instskip(NEXT) | instid1(VALU_DEP_1)
	v_div_scale_f32 v11, null, v13, v13, v9
	v_rcp_f32_e32 v12, v11
	v_nop
	s_delay_alu instid0(TRANS32_DEP_1) | instskip(NEXT) | instid1(VALU_DEP_1)
	v_fma_f32 v14, -v11, v12, 1.0
	v_fmac_f32_e32 v12, v14, v12
	v_div_scale_f32 v14, vcc_lo, v9, v13, v9
	s_delay_alu instid0(VALU_DEP_1) | instskip(NEXT) | instid1(VALU_DEP_1)
	v_mul_f32_e32 v15, v14, v12
	v_fma_f32 v16, -v11, v15, v14
	s_delay_alu instid0(VALU_DEP_1) | instskip(NEXT) | instid1(VALU_DEP_1)
	v_fmac_f32_e32 v15, v16, v12
	v_fma_f32 v11, -v11, v15, v14
	s_delay_alu instid0(VALU_DEP_1) | instskip(NEXT) | instid1(VALU_DEP_1)
	v_div_fmas_f32 v11, v11, v12, v15
	v_div_fixup_f32 v9, v11, v13, v9
.LBB8_195:
	s_or_b32 exec_lo, exec_lo, s67
	ds_load_b32 v11, v3 offset:8192
	s_wait_loadcnt_dscnt 0x0
	v_mul_f32_e32 v12, v9, v11
	ds_bpermute_b32 v12, v4, v12
	s_wait_dscnt 0x0
	v_fmac_f32_e32 v12, v9, v11
	ds_bpermute_b32 v11, v5, v12
	s_wait_dscnt 0x0
	v_add_f32_e32 v11, v12, v11
	ds_bpermute_b32 v12, v6, v11
	s_wait_dscnt 0x0
	v_add_f32_e32 v11, v11, v12
	ds_bpermute_b32 v12, v7, v11
	s_wait_dscnt 0x0
	v_add_f32_e32 v11, v11, v12
	ds_bpermute_b32 v12, v8, v11
	s_and_saveexec_b32 s67, s4
	s_cbranch_execz .LBB8_197
; %bb.196:
	s_wait_dscnt 0x0
	v_dual_mov_b32 v13, 0 :: v_dual_add_f32 v11, v11, v12
	ds_load_b32 v13, v13 offset:8320
	v_sub_f32_e32 v10, v10, v11
	s_wait_dscnt 0x0
	s_delay_alu instid0(VALU_DEP_1) | instskip(NEXT) | instid1(VALU_DEP_1)
	v_div_scale_f32 v11, null, v13, v13, v10
	v_rcp_f32_e32 v12, v11
	v_nop
	s_delay_alu instid0(TRANS32_DEP_1) | instskip(NEXT) | instid1(VALU_DEP_1)
	v_fma_f32 v14, -v11, v12, 1.0
	v_fmac_f32_e32 v12, v14, v12
	v_div_scale_f32 v14, vcc_lo, v10, v13, v10
	s_delay_alu instid0(VALU_DEP_1) | instskip(NEXT) | instid1(VALU_DEP_1)
	v_mul_f32_e32 v15, v14, v12
	v_fma_f32 v16, -v11, v15, v14
	s_delay_alu instid0(VALU_DEP_1) | instskip(NEXT) | instid1(VALU_DEP_1)
	v_fmac_f32_e32 v15, v16, v12
	v_fma_f32 v11, -v11, v15, v14
	s_delay_alu instid0(VALU_DEP_1) | instskip(NEXT) | instid1(VALU_DEP_1)
	v_div_fmas_f32 v11, v11, v12, v15
	v_div_fixup_f32 v10, v11, v13, v10
.LBB8_197:
	s_or_b32 exec_lo, exec_lo, s67
	ds_load_b32 v11, v3 offset:8448
	s_wait_dscnt 0x0
	v_mul_f32_e32 v11, v9, v11
	s_and_saveexec_b32 s67, s4
	s_cbranch_execz .LBB8_199
; %bb.198:
	ds_load_b32 v12, v3 offset:8576
	s_wait_dscnt 0x0
	v_fmac_f32_e32 v11, v10, v12
.LBB8_199:
	s_or_b32 exec_lo, exec_lo, s67
	ds_bpermute_b32 v12, v4, v11
	s_wait_dscnt 0x0
	v_add_f32_e32 v11, v11, v12
	ds_bpermute_b32 v12, v5, v11
	s_wait_dscnt 0x0
	v_add_f32_e32 v11, v11, v12
	ds_bpermute_b32 v12, v6, v11
	s_wait_dscnt 0x0
	v_add_f32_e32 v11, v11, v12
	ds_bpermute_b32 v12, v7, v11
	s_wait_dscnt 0x0
	v_add_f32_e32 v11, v11, v12
	ds_bpermute_b32 v12, v8, v11
	s_and_saveexec_b32 s4, s37
	s_cbranch_execz .LBB8_201
; %bb.200:
	s_wait_dscnt 0x0
	v_dual_mov_b32 v13, 0 :: v_dual_add_f32 v11, v11, v12
	ds_load_b32 v13, v13 offset:8580
	v_sub_f32_e32 v10, v10, v11
	s_wait_dscnt 0x0
	s_delay_alu instid0(VALU_DEP_1) | instskip(NEXT) | instid1(VALU_DEP_1)
	v_div_scale_f32 v11, null, v13, v13, v10
	v_rcp_f32_e32 v12, v11
	v_nop
	s_delay_alu instid0(TRANS32_DEP_1) | instskip(NEXT) | instid1(VALU_DEP_1)
	v_fma_f32 v14, -v11, v12, 1.0
	v_fmac_f32_e32 v12, v14, v12
	v_div_scale_f32 v14, vcc_lo, v10, v13, v10
	s_delay_alu instid0(VALU_DEP_1) | instskip(NEXT) | instid1(VALU_DEP_1)
	v_mul_f32_e32 v15, v14, v12
	v_fma_f32 v16, -v11, v15, v14
	s_delay_alu instid0(VALU_DEP_1) | instskip(NEXT) | instid1(VALU_DEP_1)
	v_fmac_f32_e32 v15, v16, v12
	v_fma_f32 v11, -v11, v15, v14
	s_delay_alu instid0(VALU_DEP_1) | instskip(NEXT) | instid1(VALU_DEP_1)
	v_div_fmas_f32 v11, v11, v12, v15
	v_div_fixup_f32 v10, v11, v13, v10
.LBB8_201:
	s_or_b32 exec_lo, exec_lo, s4
	ds_load_b32 v11, v3 offset:8704
	s_wait_dscnt 0x0
	v_mul_f32_e32 v11, v9, v11
	s_and_saveexec_b32 s4, s6
	s_cbranch_execz .LBB8_203
; %bb.202:
	ds_load_b32 v12, v3 offset:8832
	s_wait_dscnt 0x0
	v_fmac_f32_e32 v11, v10, v12
.LBB8_203:
	s_or_b32 exec_lo, exec_lo, s4
	ds_bpermute_b32 v12, v4, v11
	s_wait_dscnt 0x0
	v_add_f32_e32 v11, v11, v12
	;; [unrolled: 51-line block ×30, first 2 shown]
	ds_bpermute_b32 v12, v5, v11
	s_wait_dscnt 0x0
	v_add_f32_e32 v11, v11, v12
	ds_bpermute_b32 v12, v6, v11
	s_wait_dscnt 0x0
	v_add_f32_e32 v11, v11, v12
	;; [unrolled: 3-line block ×3, first 2 shown]
	ds_bpermute_b32 v12, v8, v11
	s_and_saveexec_b32 s4, s66
	s_cbranch_execz .LBB8_317
; %bb.316:
	s_wait_dscnt 0x0
	v_dual_mov_b32 v13, 0 :: v_dual_add_f32 v11, v11, v12
	ds_load_b32 v13, v13 offset:16120
	v_sub_f32_e32 v10, v10, v11
	s_wait_dscnt 0x0
	s_delay_alu instid0(VALU_DEP_1) | instskip(NEXT) | instid1(VALU_DEP_1)
	v_div_scale_f32 v11, null, v13, v13, v10
	v_rcp_f32_e32 v12, v11
	v_nop
	s_delay_alu instid0(TRANS32_DEP_1) | instskip(NEXT) | instid1(VALU_DEP_1)
	v_fma_f32 v14, -v11, v12, 1.0
	v_fmac_f32_e32 v12, v14, v12
	v_div_scale_f32 v14, vcc_lo, v10, v13, v10
	s_delay_alu instid0(VALU_DEP_1) | instskip(NEXT) | instid1(VALU_DEP_1)
	v_mul_f32_e32 v15, v14, v12
	v_fma_f32 v16, -v11, v15, v14
	s_delay_alu instid0(VALU_DEP_1) | instskip(NEXT) | instid1(VALU_DEP_1)
	v_fmac_f32_e32 v15, v16, v12
	v_fma_f32 v11, -v11, v15, v14
	s_delay_alu instid0(VALU_DEP_1) | instskip(NEXT) | instid1(VALU_DEP_1)
	v_div_fmas_f32 v11, v11, v12, v15
	v_div_fixup_f32 v10, v11, v13, v10
.LBB8_317:
	s_or_b32 exec_lo, exec_lo, s4
	ds_load_b32 v11, v3 offset:16128
	s_wait_dscnt 0x0
	v_mul_f32_e32 v11, v9, v11
	s_and_saveexec_b32 s4, s36
	s_cbranch_execz .LBB8_319
; %bb.318:
	ds_load_b32 v3, v3 offset:16256
	s_wait_dscnt 0x0
	v_fmac_f32_e32 v11, v10, v3
.LBB8_319:
	s_or_b32 exec_lo, exec_lo, s4
	ds_bpermute_b32 v3, v4, v11
	s_load_b64 s[0:1], s[0:1], 0x10
	s_wait_dscnt 0x0
	v_add_f32_e32 v3, v11, v3
	ds_bpermute_b32 v4, v5, v3
	s_wait_dscnt 0x0
	v_add_f32_e32 v3, v3, v4
	ds_bpermute_b32 v4, v6, v3
	;; [unrolled: 3-line block ×4, first 2 shown]
	s_and_saveexec_b32 s4, s5
	s_cbranch_execz .LBB8_321
; %bb.320:
	s_wait_dscnt 0x0
	v_dual_mov_b32 v5, 0 :: v_dual_add_f32 v3, v3, v4
	ds_load_b32 v5, v5 offset:16380
	v_sub_f32_e32 v3, v10, v3
	s_wait_dscnt 0x0
	s_delay_alu instid0(VALU_DEP_1) | instskip(NEXT) | instid1(VALU_DEP_1)
	v_div_scale_f32 v4, null, v5, v5, v3
	v_rcp_f32_e32 v6, v4
	v_nop
	s_delay_alu instid0(TRANS32_DEP_1) | instskip(NEXT) | instid1(VALU_DEP_1)
	v_fma_f32 v7, -v4, v6, 1.0
	v_fmac_f32_e32 v6, v7, v6
	v_div_scale_f32 v7, vcc_lo, v3, v5, v3
	s_delay_alu instid0(VALU_DEP_1) | instskip(NEXT) | instid1(VALU_DEP_1)
	v_mul_f32_e32 v8, v7, v6
	v_fma_f32 v10, -v4, v8, v7
	s_delay_alu instid0(VALU_DEP_1) | instskip(NEXT) | instid1(VALU_DEP_1)
	v_fmac_f32_e32 v8, v10, v6
	v_fma_f32 v4, -v4, v8, v7
	s_delay_alu instid0(VALU_DEP_1) | instskip(NEXT) | instid1(VALU_DEP_1)
	v_div_fmas_f32 v4, v4, v6, v8
	v_div_fixup_f32 v10, v4, v5, v3
.LBB8_321:
	s_or_b32 exec_lo, exec_lo, s4
	s_mul_u64 s[4:5], s[68:69], s[72:73]
	s_mul_u64 s[6:7], s[70:71], s[74:75]
	s_lshl_b64 s[4:5], s[4:5], 2
	s_wait_kmcnt 0x0
	s_add_nc_u64 s[0:1], s[0:1], s[4:5]
	s_lshl_b64 s[4:5], s[6:7], 2
	s_delay_alu instid0(SALU_CYCLE_1)
	s_add_nc_u64 s[0:1], s[0:1], s[4:5]
	s_and_saveexec_b32 s4, s2
	s_cbranch_execz .LBB8_323
; %bb.322:
	v_lshl_or_b32 v0, v0, 4, v1
	v_cndmask_b32_e64 v3, v10, v9, s3
	global_store_b32 v0, v3, s[0:1]
.LBB8_323:
	s_wait_xcnt 0x0
	s_or_b32 exec_lo, exec_lo, s4
	s_delay_alu instid0(SALU_CYCLE_1)
	s_and_b32 exec_lo, exec_lo, s3
	s_cbranch_execz .LBB8_325
; %bb.324:
	v_lshl_or_b32 v0, v2, 4, v1
	global_store_b32 v0, v10, s[0:1]
.LBB8_325:
	s_endpgm
	.section	.rodata,"a",@progbits
	.p2align	6, 0x0
	.amdhsa_kernel _ZL18solve_tri_f32_fastILi64ELi4EEvPKfS1_Pf15HIP_vector_typeIjLj3EEmmmmmmii
		.amdhsa_group_segment_fixed_size 16384
		.amdhsa_private_segment_fixed_size 0
		.amdhsa_kernarg_size 352
		.amdhsa_user_sgpr_count 2
		.amdhsa_user_sgpr_dispatch_ptr 0
		.amdhsa_user_sgpr_queue_ptr 0
		.amdhsa_user_sgpr_kernarg_segment_ptr 1
		.amdhsa_user_sgpr_dispatch_id 0
		.amdhsa_user_sgpr_kernarg_preload_length 0
		.amdhsa_user_sgpr_kernarg_preload_offset 0
		.amdhsa_user_sgpr_private_segment_size 0
		.amdhsa_wavefront_size32 1
		.amdhsa_uses_dynamic_stack 0
		.amdhsa_enable_private_segment 0
		.amdhsa_system_sgpr_workgroup_id_x 1
		.amdhsa_system_sgpr_workgroup_id_y 0
		.amdhsa_system_sgpr_workgroup_id_z 0
		.amdhsa_system_sgpr_workgroup_info 0
		.amdhsa_system_vgpr_workitem_id 1
		.amdhsa_next_free_vgpr 17
		.amdhsa_next_free_sgpr 76
		.amdhsa_named_barrier_count 0
		.amdhsa_reserve_vcc 1
		.amdhsa_float_round_mode_32 0
		.amdhsa_float_round_mode_16_64 0
		.amdhsa_float_denorm_mode_32 3
		.amdhsa_float_denorm_mode_16_64 3
		.amdhsa_fp16_overflow 0
		.amdhsa_memory_ordered 1
		.amdhsa_forward_progress 1
		.amdhsa_inst_pref_size 148
		.amdhsa_round_robin_scheduling 0
		.amdhsa_exception_fp_ieee_invalid_op 0
		.amdhsa_exception_fp_denorm_src 0
		.amdhsa_exception_fp_ieee_div_zero 0
		.amdhsa_exception_fp_ieee_overflow 0
		.amdhsa_exception_fp_ieee_underflow 0
		.amdhsa_exception_fp_ieee_inexact 0
		.amdhsa_exception_int_div_zero 0
	.end_amdhsa_kernel
	.section	.text._ZL18solve_tri_f32_fastILi64ELi4EEvPKfS1_Pf15HIP_vector_typeIjLj3EEmmmmmmii,"axG",@progbits,_ZL18solve_tri_f32_fastILi64ELi4EEvPKfS1_Pf15HIP_vector_typeIjLj3EEmmmmmmii,comdat
.Lfunc_end8:
	.size	_ZL18solve_tri_f32_fastILi64ELi4EEvPKfS1_Pf15HIP_vector_typeIjLj3EEmmmmmmii, .Lfunc_end8-_ZL18solve_tri_f32_fastILi64ELi4EEvPKfS1_Pf15HIP_vector_typeIjLj3EEmmmmmmii
                                        ; -- End function
	.set _ZL18solve_tri_f32_fastILi64ELi4EEvPKfS1_Pf15HIP_vector_typeIjLj3EEmmmmmmii.num_vgpr, 17
	.set _ZL18solve_tri_f32_fastILi64ELi4EEvPKfS1_Pf15HIP_vector_typeIjLj3EEmmmmmmii.num_agpr, 0
	.set _ZL18solve_tri_f32_fastILi64ELi4EEvPKfS1_Pf15HIP_vector_typeIjLj3EEmmmmmmii.numbered_sgpr, 76
	.set _ZL18solve_tri_f32_fastILi64ELi4EEvPKfS1_Pf15HIP_vector_typeIjLj3EEmmmmmmii.num_named_barrier, 0
	.set _ZL18solve_tri_f32_fastILi64ELi4EEvPKfS1_Pf15HIP_vector_typeIjLj3EEmmmmmmii.private_seg_size, 0
	.set _ZL18solve_tri_f32_fastILi64ELi4EEvPKfS1_Pf15HIP_vector_typeIjLj3EEmmmmmmii.uses_vcc, 1
	.set _ZL18solve_tri_f32_fastILi64ELi4EEvPKfS1_Pf15HIP_vector_typeIjLj3EEmmmmmmii.uses_flat_scratch, 0
	.set _ZL18solve_tri_f32_fastILi64ELi4EEvPKfS1_Pf15HIP_vector_typeIjLj3EEmmmmmmii.has_dyn_sized_stack, 0
	.set _ZL18solve_tri_f32_fastILi64ELi4EEvPKfS1_Pf15HIP_vector_typeIjLj3EEmmmmmmii.has_recursion, 0
	.set _ZL18solve_tri_f32_fastILi64ELi4EEvPKfS1_Pf15HIP_vector_typeIjLj3EEmmmmmmii.has_indirect_call, 0
	.section	.AMDGPU.csdata,"",@progbits
; Kernel info:
; codeLenInByte = 18840
; TotalNumSgprs: 78
; NumVgprs: 17
; ScratchSize: 0
; MemoryBound: 0
; FloatMode: 240
; IeeeMode: 1
; LDSByteSize: 16384 bytes/workgroup (compile time only)
; SGPRBlocks: 0
; VGPRBlocks: 1
; NumSGPRsForWavesPerEU: 78
; NumVGPRsForWavesPerEU: 17
; NamedBarCnt: 0
; Occupancy: 16
; WaveLimiterHint : 0
; COMPUTE_PGM_RSRC2:SCRATCH_EN: 0
; COMPUTE_PGM_RSRC2:USER_SGPR: 2
; COMPUTE_PGM_RSRC2:TRAP_HANDLER: 0
; COMPUTE_PGM_RSRC2:TGID_X_EN: 1
; COMPUTE_PGM_RSRC2:TGID_Y_EN: 0
; COMPUTE_PGM_RSRC2:TGID_Z_EN: 0
; COMPUTE_PGM_RSRC2:TIDIG_COMP_CNT: 1
	.section	.text._ZL18solve_tri_f32_fastILi64ELi2EEvPKfS1_Pf15HIP_vector_typeIjLj3EEmmmmmmii,"axG",@progbits,_ZL18solve_tri_f32_fastILi64ELi2EEvPKfS1_Pf15HIP_vector_typeIjLj3EEmmmmmmii,comdat
	.globl	_ZL18solve_tri_f32_fastILi64ELi2EEvPKfS1_Pf15HIP_vector_typeIjLj3EEmmmmmmii ; -- Begin function _ZL18solve_tri_f32_fastILi64ELi2EEvPKfS1_Pf15HIP_vector_typeIjLj3EEmmmmmmii
	.p2align	8
	.type	_ZL18solve_tri_f32_fastILi64ELi2EEvPKfS1_Pf15HIP_vector_typeIjLj3EEmmmmmmii,@function
_ZL18solve_tri_f32_fastILi64ELi2EEvPKfS1_Pf15HIP_vector_typeIjLj3EEmmmmmmii: ; @_ZL18solve_tri_f32_fastILi64ELi2EEvPKfS1_Pf15HIP_vector_typeIjLj3EEmmmmmmii
; %bb.0:
	v_bfe_u32 v1, v0, 10, 10
	s_mov_b32 s2, exec_lo
	s_delay_alu instid0(VALU_DEP_1)
	v_cmpx_gt_u32_e32 2, v1
	s_cbranch_execz .LBB9_389
; %bb.1:
	s_clause 0x2
	s_load_b96 s[12:14], s[0:1], 0x18
	s_load_b32 s15, s[0:1], 0x6c
	s_load_b256 s[4:11], s[0:1], 0x28
	s_bfe_u32 s16, ttmp6, 0x4000c
	s_and_b32 s17, ttmp6, 15
	s_add_co_i32 s16, s16, 1
	s_load_b64 s[2:3], s[0:1], 0x0
	s_mul_i32 s16, ttmp9, s16
	s_getreg_b32 s18, hwreg(HW_REG_IB_STS2, 6, 4)
	s_add_co_i32 s17, s17, s16
	s_cmp_eq_u32 s18, 0
	v_and_b32_e32 v0, 0x3ff, v0
	s_cselect_b32 s16, ttmp9, s17
	s_mov_b32 s73, 0
	s_delay_alu instid0(SALU_CYCLE_1)
	s_mov_b32 s75, s73
	s_wait_kmcnt 0x0
	s_mul_hi_u32 s12, s12, s16
	s_and_b32 s15, s15, 0xffff
	s_add_co_i32 s12, s16, s12
	v_mad_u32_u24 v2, v1, s15, v0
	s_lshr_b32 s74, s12, s13
	s_delay_alu instid0(SALU_CYCLE_1) | instskip(SKIP_4) | instid1(SALU_CYCLE_1)
	s_mul_i32 s12, s74, s14
	s_mul_u64 s[6:7], s[6:7], s[74:75]
	s_sub_co_i32 s72, s16, s12
	v_lshlrev_b32_e32 v3, 2, v2
	s_mul_u64 s[4:5], s[4:5], s[72:73]
	s_lshl_b64 s[4:5], s[4:5], 2
	s_delay_alu instid0(SALU_CYCLE_1) | instskip(SKIP_1) | instid1(SALU_CYCLE_1)
	s_add_nc_u64 s[2:3], s[2:3], s[4:5]
	s_lshl_b64 s[4:5], s[6:7], 2
	s_add_nc_u64 s[2:3], s[2:3], s[4:5]
	s_mov_b32 s4, exec_lo
	v_cmpx_gt_u32_e32 0x1000, v2
	s_cbranch_execz .LBB9_3
; %bb.2:
	global_load_b32 v4, v2, s[2:3] scale_offset
	s_wait_loadcnt 0x0
	ds_store_b32 v3, v4
.LBB9_3:
	s_or_b32 exec_lo, exec_lo, s4
	s_delay_alu instid0(SALU_CYCLE_1)
	s_mov_b32 s4, exec_lo
	v_cmpx_gt_u32_e32 0xfc0, v2
	s_cbranch_execz .LBB9_5
; %bb.4:
	global_load_b32 v4, v2, s[2:3] offset:256 scale_offset
	s_wait_loadcnt 0x0
	ds_store_b32 v3, v4 offset:256
.LBB9_5:
	s_or_b32 exec_lo, exec_lo, s4
	s_delay_alu instid0(SALU_CYCLE_1)
	s_mov_b32 s4, exec_lo
	v_cmpx_gt_u32_e32 0xf80, v2
	s_cbranch_execz .LBB9_7
; %bb.6:
	global_load_b32 v4, v2, s[2:3] offset:512 scale_offset
	s_wait_loadcnt 0x0
	ds_store_b32 v3, v4 offset:512
.LBB9_7:
	;; [unrolled: 10-line block ×60, first 2 shown]
	s_or_b32 exec_lo, exec_lo, s4
	s_load_b128 s[68:71], s[0:1], 0x48
	s_mov_b32 s4, exec_lo
	v_cmpx_gt_u32_e32 0xc0, v2
	s_cbranch_execz .LBB9_125
; %bb.124:
	global_load_b32 v4, v2, s[2:3] offset:15616 scale_offset
	s_wait_loadcnt 0x0
	ds_store_b32 v3, v4 offset:15616
.LBB9_125:
	s_or_b32 exec_lo, exec_lo, s4
	s_delay_alu instid0(SALU_CYCLE_1)
	s_mov_b32 s4, exec_lo
	v_cmpx_gt_u32_e32 0x80, v2
	s_cbranch_execz .LBB9_127
; %bb.126:
	global_load_b32 v4, v2, s[2:3] offset:15872 scale_offset
	s_wait_loadcnt 0x0
	ds_store_b32 v3, v4 offset:15872
.LBB9_127:
	s_or_b32 exec_lo, exec_lo, s4
	s_load_b64 s[4:5], s[0:1], 0x8
	s_mov_b32 s6, exec_lo
	v_cmpx_gt_u32_e32 64, v2
	s_cbranch_execz .LBB9_129
; %bb.128:
	global_load_b32 v2, v2, s[2:3] offset:16128 scale_offset
	s_wait_loadcnt 0x0
	ds_store_b32 v3, v2 offset:16128
.LBB9_129:
	s_or_b32 exec_lo, exec_lo, s6
	s_mul_u64 s[2:3], s[8:9], s[72:73]
	s_mul_u64 s[6:7], s[10:11], s[74:75]
	s_lshl_b64 s[2:3], s[2:3], 2
	v_dual_mov_b32 v10, 0 :: v_dual_lshlrev_b32 v1, 2, v1
	s_wait_kmcnt 0x0
	s_add_nc_u64 s[4:5], s[4:5], s[2:3]
	v_cmp_gt_u32_e64 s2, 64, v0
	v_mov_b32_e32 v9, 0
	s_lshl_b64 s[6:7], s[6:7], 2
	s_wait_dscnt 0x0
	s_add_nc_u64 s[4:5], s[4:5], s[6:7]
	s_barrier_signal -1
	s_barrier_wait -1
	s_and_saveexec_b32 s3, s2
	s_cbranch_execz .LBB9_131
; %bb.130:
	v_lshl_or_b32 v2, v0, 3, v1
	global_load_b32 v9, v2, s[4:5]
.LBB9_131:
	s_wait_xcnt 0x0
	s_or_b32 exec_lo, exec_lo, s3
	v_add_nc_u32_e32 v2, 32, v0
	v_cmp_gt_u32_e64 s3, 32, v0
	s_and_saveexec_b32 s6, s3
	s_cbranch_execz .LBB9_133
; %bb.132:
	v_lshl_or_b32 v3, v2, 3, v1
	global_load_b32 v10, v3, s[4:5]
.LBB9_133:
	s_wait_xcnt 0x0
	s_or_b32 exec_lo, exec_lo, s6
	v_cmp_eq_u32_e64 s4, 0, v0
	s_and_saveexec_b32 s5, s4
	s_cbranch_execz .LBB9_135
; %bb.134:
	v_mov_b32_e32 v3, 0
	ds_load_b32 v3, v3
	s_wait_loadcnt_dscnt 0x0
	v_div_scale_f32 v4, null, v3, v3, v9
	s_delay_alu instid0(VALU_DEP_1) | instskip(SKIP_1) | instid1(TRANS32_DEP_1)
	v_rcp_f32_e32 v5, v4
	v_nop
	v_fma_f32 v6, -v4, v5, 1.0
	s_delay_alu instid0(VALU_DEP_1) | instskip(SKIP_1) | instid1(VALU_DEP_1)
	v_fmac_f32_e32 v5, v6, v5
	v_div_scale_f32 v6, vcc_lo, v9, v3, v9
	v_mul_f32_e32 v7, v6, v5
	s_delay_alu instid0(VALU_DEP_1) | instskip(NEXT) | instid1(VALU_DEP_1)
	v_fma_f32 v8, -v4, v7, v6
	v_fmac_f32_e32 v7, v8, v5
	s_delay_alu instid0(VALU_DEP_1) | instskip(NEXT) | instid1(VALU_DEP_1)
	v_fma_f32 v4, -v4, v7, v6
	v_div_fmas_f32 v4, v4, v5, v7
	s_delay_alu instid0(VALU_DEP_1)
	v_div_fixup_f32 v9, v4, v3, v9
.LBB9_135:
	s_or_b32 exec_lo, exec_lo, s5
	v_dual_mov_b32 v6, 0 :: v_dual_lshlrev_b32 v3, 2, v0
	s_and_saveexec_b32 s5, s4
	s_cbranch_execz .LBB9_137
; %bb.136:
	ds_load_b32 v4, v3 offset:256
	s_wait_loadcnt_dscnt 0x0
	v_fma_f32 v6, v9, v4, 0
.LBB9_137:
	s_or_b32 exec_lo, exec_lo, s5
	v_mbcnt_lo_u32_b32 v8, -1, 0
	v_cmp_eq_u32_e64 s37, 1, v0
	s_delay_alu instid0(VALU_DEP_2) | instskip(SKIP_2) | instid1(VALU_DEP_2)
	v_xor_b32_e32 v5, 8, v8
	v_xor_b32_e32 v4, 16, v8
	;; [unrolled: 1-line block ×3, first 2 shown]
	v_cmp_gt_i32_e32 vcc_lo, 32, v4
	v_cndmask_b32_e32 v4, v8, v4, vcc_lo
	v_cmp_gt_i32_e32 vcc_lo, 32, v5
	v_cndmask_b32_e32 v5, v8, v5, vcc_lo
	s_delay_alu instid0(VALU_DEP_1)
	v_dual_lshlrev_b32 v5, 2, v5 :: v_dual_lshlrev_b32 v4, 2, v4
	ds_bpermute_b32 v7, v4, v6
	s_wait_dscnt 0x0
	v_add_f32_e32 v7, v6, v7
	ds_bpermute_b32 v11, v5, v7
	s_wait_dscnt 0x0
	v_dual_add_f32 v11, v7, v11 :: v_dual_bitop2_b32 v6, 4, v8 bitop3:0x14
	s_delay_alu instid0(VALU_DEP_1) | instskip(SKIP_1) | instid1(VALU_DEP_1)
	v_cmp_gt_i32_e32 vcc_lo, 32, v6
	v_dual_cndmask_b32 v6, v8, v6, vcc_lo :: v_dual_bitop2_b32 v7, 2, v8 bitop3:0x14
	v_cmp_gt_i32_e32 vcc_lo, 32, v7
	s_delay_alu instid0(VALU_DEP_2) | instskip(SKIP_4) | instid1(VALU_DEP_2)
	v_lshlrev_b32_e32 v6, 2, v6
	ds_bpermute_b32 v12, v6, v11
	v_cndmask_b32_e32 v7, v8, v7, vcc_lo
	v_cmp_gt_i32_e32 vcc_lo, 32, v13
	s_wait_dscnt 0x0
	v_dual_add_f32 v11, v11, v12 :: v_dual_lshlrev_b32 v7, 2, v7
	ds_bpermute_b32 v12, v7, v11
	s_wait_dscnt 0x0
	v_dual_cndmask_b32 v8, v8, v13 :: v_dual_add_f32 v11, v11, v12
	s_delay_alu instid0(VALU_DEP_1)
	v_lshlrev_b32_e32 v8, 2, v8
	ds_bpermute_b32 v12, v8, v11
	s_and_saveexec_b32 s5, s37
	s_cbranch_execz .LBB9_139
; %bb.138:
	s_wait_dscnt 0x0
	v_dual_mov_b32 v13, 0 :: v_dual_add_f32 v11, v11, v12
	ds_load_b32 v13, v13 offset:260
	s_wait_loadcnt 0x0
	v_sub_f32_e32 v9, v9, v11
	s_wait_dscnt 0x0
	s_delay_alu instid0(VALU_DEP_1) | instskip(NEXT) | instid1(VALU_DEP_1)
	v_div_scale_f32 v11, null, v13, v13, v9
	v_rcp_f32_e32 v12, v11
	v_nop
	s_delay_alu instid0(TRANS32_DEP_1) | instskip(NEXT) | instid1(VALU_DEP_1)
	v_fma_f32 v14, -v11, v12, 1.0
	v_fmac_f32_e32 v12, v14, v12
	v_div_scale_f32 v14, vcc_lo, v9, v13, v9
	s_delay_alu instid0(VALU_DEP_1) | instskip(NEXT) | instid1(VALU_DEP_1)
	v_mul_f32_e32 v15, v14, v12
	v_fma_f32 v16, -v11, v15, v14
	s_delay_alu instid0(VALU_DEP_1) | instskip(NEXT) | instid1(VALU_DEP_1)
	v_fmac_f32_e32 v15, v16, v12
	v_fma_f32 v11, -v11, v15, v14
	s_delay_alu instid0(VALU_DEP_1) | instskip(NEXT) | instid1(VALU_DEP_1)
	v_div_fmas_f32 v11, v11, v12, v15
	v_div_fixup_f32 v9, v11, v13, v9
.LBB9_139:
	s_or_b32 exec_lo, exec_lo, s5
	v_cmp_gt_u32_e64 s6, 2, v0
	v_mov_b32_e32 v11, 0
	s_and_saveexec_b32 s5, s6
	s_cbranch_execz .LBB9_141
; %bb.140:
	ds_load_b32 v11, v3 offset:512
	s_wait_loadcnt_dscnt 0x0
	v_fma_f32 v11, v9, v11, 0
.LBB9_141:
	s_or_b32 exec_lo, exec_lo, s5
	s_wait_dscnt 0x0
	ds_bpermute_b32 v12, v4, v11
	v_cmp_eq_u32_e64 s38, 2, v0
	s_wait_dscnt 0x0
	v_add_f32_e32 v11, v11, v12
	ds_bpermute_b32 v12, v5, v11
	s_wait_dscnt 0x0
	v_add_f32_e32 v11, v11, v12
	ds_bpermute_b32 v12, v6, v11
	s_wait_dscnt 0x0
	v_add_f32_e32 v11, v11, v12
	ds_bpermute_b32 v12, v7, v11
	s_wait_dscnt 0x0
	v_add_f32_e32 v11, v11, v12
	ds_bpermute_b32 v12, v8, v11
	s_and_saveexec_b32 s5, s38
	s_cbranch_execz .LBB9_143
; %bb.142:
	s_wait_dscnt 0x0
	v_dual_mov_b32 v13, 0 :: v_dual_add_f32 v11, v11, v12
	ds_load_b32 v13, v13 offset:520
	s_wait_loadcnt 0x0
	v_sub_f32_e32 v9, v9, v11
	s_wait_dscnt 0x0
	s_delay_alu instid0(VALU_DEP_1) | instskip(NEXT) | instid1(VALU_DEP_1)
	v_div_scale_f32 v11, null, v13, v13, v9
	v_rcp_f32_e32 v12, v11
	v_nop
	s_delay_alu instid0(TRANS32_DEP_1) | instskip(NEXT) | instid1(VALU_DEP_1)
	v_fma_f32 v14, -v11, v12, 1.0
	v_fmac_f32_e32 v12, v14, v12
	v_div_scale_f32 v14, vcc_lo, v9, v13, v9
	s_delay_alu instid0(VALU_DEP_1) | instskip(NEXT) | instid1(VALU_DEP_1)
	v_mul_f32_e32 v15, v14, v12
	v_fma_f32 v16, -v11, v15, v14
	s_delay_alu instid0(VALU_DEP_1) | instskip(NEXT) | instid1(VALU_DEP_1)
	v_fmac_f32_e32 v15, v16, v12
	v_fma_f32 v11, -v11, v15, v14
	s_delay_alu instid0(VALU_DEP_1) | instskip(NEXT) | instid1(VALU_DEP_1)
	v_div_fmas_f32 v11, v11, v12, v15
	v_div_fixup_f32 v9, v11, v13, v9
.LBB9_143:
	s_or_b32 exec_lo, exec_lo, s5
	v_cmp_gt_u32_e64 s7, 3, v0
	v_mov_b32_e32 v11, 0
	s_and_saveexec_b32 s5, s7
	s_cbranch_execz .LBB9_145
; %bb.144:
	ds_load_b32 v11, v3 offset:768
	s_wait_loadcnt_dscnt 0x0
	v_fma_f32 v11, v9, v11, 0
.LBB9_145:
	s_or_b32 exec_lo, exec_lo, s5
	s_wait_dscnt 0x0
	ds_bpermute_b32 v12, v4, v11
	v_cmp_eq_u32_e64 s39, 3, v0
	s_wait_dscnt 0x0
	v_add_f32_e32 v11, v11, v12
	ds_bpermute_b32 v12, v5, v11
	s_wait_dscnt 0x0
	v_add_f32_e32 v11, v11, v12
	ds_bpermute_b32 v12, v6, v11
	s_wait_dscnt 0x0
	v_add_f32_e32 v11, v11, v12
	ds_bpermute_b32 v12, v7, v11
	s_wait_dscnt 0x0
	v_add_f32_e32 v11, v11, v12
	;; [unrolled: 53-line block ×30, first 2 shown]
	ds_bpermute_b32 v12, v8, v11
	s_and_saveexec_b32 s67, s5
	s_cbranch_execz .LBB9_259
; %bb.258:
	s_wait_dscnt 0x0
	v_dual_mov_b32 v13, 0 :: v_dual_add_f32 v11, v11, v12
	ds_load_b32 v13, v13 offset:8060
	s_wait_loadcnt 0x0
	v_sub_f32_e32 v9, v9, v11
	s_wait_dscnt 0x0
	s_delay_alu instid0(VALU_DEP_1) | instskip(NEXT) | instid1(VALU_DEP_1)
	v_div_scale_f32 v11, null, v13, v13, v9
	v_rcp_f32_e32 v12, v11
	v_nop
	s_delay_alu instid0(TRANS32_DEP_1) | instskip(NEXT) | instid1(VALU_DEP_1)
	v_fma_f32 v14, -v11, v12, 1.0
	v_fmac_f32_e32 v12, v14, v12
	v_div_scale_f32 v14, vcc_lo, v9, v13, v9
	s_delay_alu instid0(VALU_DEP_1) | instskip(NEXT) | instid1(VALU_DEP_1)
	v_mul_f32_e32 v15, v14, v12
	v_fma_f32 v16, -v11, v15, v14
	s_delay_alu instid0(VALU_DEP_1) | instskip(NEXT) | instid1(VALU_DEP_1)
	v_fmac_f32_e32 v15, v16, v12
	v_fma_f32 v11, -v11, v15, v14
	s_delay_alu instid0(VALU_DEP_1) | instskip(NEXT) | instid1(VALU_DEP_1)
	v_div_fmas_f32 v11, v11, v12, v15
	v_div_fixup_f32 v9, v11, v13, v9
.LBB9_259:
	s_or_b32 exec_lo, exec_lo, s67
	ds_load_b32 v11, v3 offset:8192
	s_wait_loadcnt_dscnt 0x0
	v_mul_f32_e32 v12, v9, v11
	ds_bpermute_b32 v12, v4, v12
	s_wait_dscnt 0x0
	v_fmac_f32_e32 v12, v9, v11
	ds_bpermute_b32 v11, v5, v12
	s_wait_dscnt 0x0
	v_add_f32_e32 v11, v12, v11
	ds_bpermute_b32 v12, v6, v11
	s_wait_dscnt 0x0
	v_add_f32_e32 v11, v11, v12
	ds_bpermute_b32 v12, v7, v11
	s_wait_dscnt 0x0
	v_add_f32_e32 v11, v11, v12
	ds_bpermute_b32 v12, v8, v11
	s_and_saveexec_b32 s67, s4
	s_cbranch_execz .LBB9_261
; %bb.260:
	s_wait_dscnt 0x0
	v_dual_mov_b32 v13, 0 :: v_dual_add_f32 v11, v11, v12
	ds_load_b32 v13, v13 offset:8320
	v_sub_f32_e32 v10, v10, v11
	s_wait_dscnt 0x0
	s_delay_alu instid0(VALU_DEP_1) | instskip(NEXT) | instid1(VALU_DEP_1)
	v_div_scale_f32 v11, null, v13, v13, v10
	v_rcp_f32_e32 v12, v11
	v_nop
	s_delay_alu instid0(TRANS32_DEP_1) | instskip(NEXT) | instid1(VALU_DEP_1)
	v_fma_f32 v14, -v11, v12, 1.0
	v_fmac_f32_e32 v12, v14, v12
	v_div_scale_f32 v14, vcc_lo, v10, v13, v10
	s_delay_alu instid0(VALU_DEP_1) | instskip(NEXT) | instid1(VALU_DEP_1)
	v_mul_f32_e32 v15, v14, v12
	v_fma_f32 v16, -v11, v15, v14
	s_delay_alu instid0(VALU_DEP_1) | instskip(NEXT) | instid1(VALU_DEP_1)
	v_fmac_f32_e32 v15, v16, v12
	v_fma_f32 v11, -v11, v15, v14
	s_delay_alu instid0(VALU_DEP_1) | instskip(NEXT) | instid1(VALU_DEP_1)
	v_div_fmas_f32 v11, v11, v12, v15
	v_div_fixup_f32 v10, v11, v13, v10
.LBB9_261:
	s_or_b32 exec_lo, exec_lo, s67
	ds_load_b32 v11, v3 offset:8448
	s_wait_dscnt 0x0
	v_mul_f32_e32 v11, v9, v11
	s_and_saveexec_b32 s67, s4
	s_cbranch_execz .LBB9_263
; %bb.262:
	ds_load_b32 v12, v3 offset:8576
	s_wait_dscnt 0x0
	v_fmac_f32_e32 v11, v10, v12
.LBB9_263:
	s_or_b32 exec_lo, exec_lo, s67
	ds_bpermute_b32 v12, v4, v11
	s_wait_dscnt 0x0
	v_add_f32_e32 v11, v11, v12
	ds_bpermute_b32 v12, v5, v11
	s_wait_dscnt 0x0
	v_add_f32_e32 v11, v11, v12
	ds_bpermute_b32 v12, v6, v11
	s_wait_dscnt 0x0
	v_add_f32_e32 v11, v11, v12
	ds_bpermute_b32 v12, v7, v11
	s_wait_dscnt 0x0
	v_add_f32_e32 v11, v11, v12
	ds_bpermute_b32 v12, v8, v11
	s_and_saveexec_b32 s4, s37
	s_cbranch_execz .LBB9_265
; %bb.264:
	s_wait_dscnt 0x0
	v_dual_mov_b32 v13, 0 :: v_dual_add_f32 v11, v11, v12
	ds_load_b32 v13, v13 offset:8580
	v_sub_f32_e32 v10, v10, v11
	s_wait_dscnt 0x0
	s_delay_alu instid0(VALU_DEP_1) | instskip(NEXT) | instid1(VALU_DEP_1)
	v_div_scale_f32 v11, null, v13, v13, v10
	v_rcp_f32_e32 v12, v11
	v_nop
	s_delay_alu instid0(TRANS32_DEP_1) | instskip(NEXT) | instid1(VALU_DEP_1)
	v_fma_f32 v14, -v11, v12, 1.0
	v_fmac_f32_e32 v12, v14, v12
	v_div_scale_f32 v14, vcc_lo, v10, v13, v10
	s_delay_alu instid0(VALU_DEP_1) | instskip(NEXT) | instid1(VALU_DEP_1)
	v_mul_f32_e32 v15, v14, v12
	v_fma_f32 v16, -v11, v15, v14
	s_delay_alu instid0(VALU_DEP_1) | instskip(NEXT) | instid1(VALU_DEP_1)
	v_fmac_f32_e32 v15, v16, v12
	v_fma_f32 v11, -v11, v15, v14
	s_delay_alu instid0(VALU_DEP_1) | instskip(NEXT) | instid1(VALU_DEP_1)
	v_div_fmas_f32 v11, v11, v12, v15
	v_div_fixup_f32 v10, v11, v13, v10
.LBB9_265:
	s_or_b32 exec_lo, exec_lo, s4
	ds_load_b32 v11, v3 offset:8704
	s_wait_dscnt 0x0
	v_mul_f32_e32 v11, v9, v11
	s_and_saveexec_b32 s4, s6
	s_cbranch_execz .LBB9_267
; %bb.266:
	ds_load_b32 v12, v3 offset:8832
	s_wait_dscnt 0x0
	v_fmac_f32_e32 v11, v10, v12
.LBB9_267:
	s_or_b32 exec_lo, exec_lo, s4
	ds_bpermute_b32 v12, v4, v11
	s_wait_dscnt 0x0
	v_add_f32_e32 v11, v11, v12
	;; [unrolled: 51-line block ×30, first 2 shown]
	ds_bpermute_b32 v12, v5, v11
	s_wait_dscnt 0x0
	v_add_f32_e32 v11, v11, v12
	ds_bpermute_b32 v12, v6, v11
	s_wait_dscnt 0x0
	v_add_f32_e32 v11, v11, v12
	;; [unrolled: 3-line block ×3, first 2 shown]
	ds_bpermute_b32 v12, v8, v11
	s_and_saveexec_b32 s4, s66
	s_cbranch_execz .LBB9_381
; %bb.380:
	s_wait_dscnt 0x0
	v_dual_mov_b32 v13, 0 :: v_dual_add_f32 v11, v11, v12
	ds_load_b32 v13, v13 offset:16120
	v_sub_f32_e32 v10, v10, v11
	s_wait_dscnt 0x0
	s_delay_alu instid0(VALU_DEP_1) | instskip(NEXT) | instid1(VALU_DEP_1)
	v_div_scale_f32 v11, null, v13, v13, v10
	v_rcp_f32_e32 v12, v11
	v_nop
	s_delay_alu instid0(TRANS32_DEP_1) | instskip(NEXT) | instid1(VALU_DEP_1)
	v_fma_f32 v14, -v11, v12, 1.0
	v_fmac_f32_e32 v12, v14, v12
	v_div_scale_f32 v14, vcc_lo, v10, v13, v10
	s_delay_alu instid0(VALU_DEP_1) | instskip(NEXT) | instid1(VALU_DEP_1)
	v_mul_f32_e32 v15, v14, v12
	v_fma_f32 v16, -v11, v15, v14
	s_delay_alu instid0(VALU_DEP_1) | instskip(NEXT) | instid1(VALU_DEP_1)
	v_fmac_f32_e32 v15, v16, v12
	v_fma_f32 v11, -v11, v15, v14
	s_delay_alu instid0(VALU_DEP_1) | instskip(NEXT) | instid1(VALU_DEP_1)
	v_div_fmas_f32 v11, v11, v12, v15
	v_div_fixup_f32 v10, v11, v13, v10
.LBB9_381:
	s_or_b32 exec_lo, exec_lo, s4
	ds_load_b32 v11, v3 offset:16128
	s_wait_dscnt 0x0
	v_mul_f32_e32 v11, v9, v11
	s_and_saveexec_b32 s4, s36
	s_cbranch_execz .LBB9_383
; %bb.382:
	ds_load_b32 v3, v3 offset:16256
	s_wait_dscnt 0x0
	v_fmac_f32_e32 v11, v10, v3
.LBB9_383:
	s_or_b32 exec_lo, exec_lo, s4
	ds_bpermute_b32 v3, v4, v11
	s_load_b64 s[0:1], s[0:1], 0x10
	s_wait_dscnt 0x0
	v_add_f32_e32 v3, v11, v3
	ds_bpermute_b32 v4, v5, v3
	s_wait_dscnt 0x0
	v_add_f32_e32 v3, v3, v4
	ds_bpermute_b32 v4, v6, v3
	;; [unrolled: 3-line block ×4, first 2 shown]
	s_and_saveexec_b32 s4, s5
	s_cbranch_execz .LBB9_385
; %bb.384:
	s_wait_dscnt 0x0
	v_dual_mov_b32 v5, 0 :: v_dual_add_f32 v3, v3, v4
	ds_load_b32 v5, v5 offset:16380
	v_sub_f32_e32 v3, v10, v3
	s_wait_dscnt 0x0
	s_delay_alu instid0(VALU_DEP_1) | instskip(NEXT) | instid1(VALU_DEP_1)
	v_div_scale_f32 v4, null, v5, v5, v3
	v_rcp_f32_e32 v6, v4
	v_nop
	s_delay_alu instid0(TRANS32_DEP_1) | instskip(NEXT) | instid1(VALU_DEP_1)
	v_fma_f32 v7, -v4, v6, 1.0
	v_fmac_f32_e32 v6, v7, v6
	v_div_scale_f32 v7, vcc_lo, v3, v5, v3
	s_delay_alu instid0(VALU_DEP_1) | instskip(NEXT) | instid1(VALU_DEP_1)
	v_mul_f32_e32 v8, v7, v6
	v_fma_f32 v10, -v4, v8, v7
	s_delay_alu instid0(VALU_DEP_1) | instskip(NEXT) | instid1(VALU_DEP_1)
	v_fmac_f32_e32 v8, v10, v6
	v_fma_f32 v4, -v4, v8, v7
	s_delay_alu instid0(VALU_DEP_1) | instskip(NEXT) | instid1(VALU_DEP_1)
	v_div_fmas_f32 v4, v4, v6, v8
	v_div_fixup_f32 v10, v4, v5, v3
.LBB9_385:
	s_or_b32 exec_lo, exec_lo, s4
	s_mul_u64 s[4:5], s[68:69], s[72:73]
	s_mul_u64 s[6:7], s[70:71], s[74:75]
	s_lshl_b64 s[4:5], s[4:5], 2
	s_wait_kmcnt 0x0
	s_add_nc_u64 s[0:1], s[0:1], s[4:5]
	s_lshl_b64 s[4:5], s[6:7], 2
	s_delay_alu instid0(SALU_CYCLE_1)
	s_add_nc_u64 s[0:1], s[0:1], s[4:5]
	s_and_saveexec_b32 s4, s2
	s_cbranch_execz .LBB9_387
; %bb.386:
	v_lshl_or_b32 v0, v0, 3, v1
	v_cndmask_b32_e64 v3, v10, v9, s3
	global_store_b32 v0, v3, s[0:1]
.LBB9_387:
	s_wait_xcnt 0x0
	s_or_b32 exec_lo, exec_lo, s4
	s_delay_alu instid0(SALU_CYCLE_1)
	s_and_b32 exec_lo, exec_lo, s3
	s_cbranch_execz .LBB9_389
; %bb.388:
	v_lshl_or_b32 v0, v2, 3, v1
	global_store_b32 v0, v10, s[0:1]
.LBB9_389:
	s_endpgm
	.section	.rodata,"a",@progbits
	.p2align	6, 0x0
	.amdhsa_kernel _ZL18solve_tri_f32_fastILi64ELi2EEvPKfS1_Pf15HIP_vector_typeIjLj3EEmmmmmmii
		.amdhsa_group_segment_fixed_size 16384
		.amdhsa_private_segment_fixed_size 0
		.amdhsa_kernarg_size 352
		.amdhsa_user_sgpr_count 2
		.amdhsa_user_sgpr_dispatch_ptr 0
		.amdhsa_user_sgpr_queue_ptr 0
		.amdhsa_user_sgpr_kernarg_segment_ptr 1
		.amdhsa_user_sgpr_dispatch_id 0
		.amdhsa_user_sgpr_kernarg_preload_length 0
		.amdhsa_user_sgpr_kernarg_preload_offset 0
		.amdhsa_user_sgpr_private_segment_size 0
		.amdhsa_wavefront_size32 1
		.amdhsa_uses_dynamic_stack 0
		.amdhsa_enable_private_segment 0
		.amdhsa_system_sgpr_workgroup_id_x 1
		.amdhsa_system_sgpr_workgroup_id_y 0
		.amdhsa_system_sgpr_workgroup_id_z 0
		.amdhsa_system_sgpr_workgroup_info 0
		.amdhsa_system_vgpr_workitem_id 1
		.amdhsa_next_free_vgpr 17
		.amdhsa_next_free_sgpr 76
		.amdhsa_named_barrier_count 0
		.amdhsa_reserve_vcc 1
		.amdhsa_float_round_mode_32 0
		.amdhsa_float_round_mode_16_64 0
		.amdhsa_float_denorm_mode_32 3
		.amdhsa_float_denorm_mode_16_64 3
		.amdhsa_fp16_overflow 0
		.amdhsa_memory_ordered 1
		.amdhsa_forward_progress 1
		.amdhsa_inst_pref_size 160
		.amdhsa_round_robin_scheduling 0
		.amdhsa_exception_fp_ieee_invalid_op 0
		.amdhsa_exception_fp_denorm_src 0
		.amdhsa_exception_fp_ieee_div_zero 0
		.amdhsa_exception_fp_ieee_overflow 0
		.amdhsa_exception_fp_ieee_underflow 0
		.amdhsa_exception_fp_ieee_inexact 0
		.amdhsa_exception_int_div_zero 0
	.end_amdhsa_kernel
	.section	.text._ZL18solve_tri_f32_fastILi64ELi2EEvPKfS1_Pf15HIP_vector_typeIjLj3EEmmmmmmii,"axG",@progbits,_ZL18solve_tri_f32_fastILi64ELi2EEvPKfS1_Pf15HIP_vector_typeIjLj3EEmmmmmmii,comdat
.Lfunc_end9:
	.size	_ZL18solve_tri_f32_fastILi64ELi2EEvPKfS1_Pf15HIP_vector_typeIjLj3EEmmmmmmii, .Lfunc_end9-_ZL18solve_tri_f32_fastILi64ELi2EEvPKfS1_Pf15HIP_vector_typeIjLj3EEmmmmmmii
                                        ; -- End function
	.set _ZL18solve_tri_f32_fastILi64ELi2EEvPKfS1_Pf15HIP_vector_typeIjLj3EEmmmmmmii.num_vgpr, 17
	.set _ZL18solve_tri_f32_fastILi64ELi2EEvPKfS1_Pf15HIP_vector_typeIjLj3EEmmmmmmii.num_agpr, 0
	.set _ZL18solve_tri_f32_fastILi64ELi2EEvPKfS1_Pf15HIP_vector_typeIjLj3EEmmmmmmii.numbered_sgpr, 76
	.set _ZL18solve_tri_f32_fastILi64ELi2EEvPKfS1_Pf15HIP_vector_typeIjLj3EEmmmmmmii.num_named_barrier, 0
	.set _ZL18solve_tri_f32_fastILi64ELi2EEvPKfS1_Pf15HIP_vector_typeIjLj3EEmmmmmmii.private_seg_size, 0
	.set _ZL18solve_tri_f32_fastILi64ELi2EEvPKfS1_Pf15HIP_vector_typeIjLj3EEmmmmmmii.uses_vcc, 1
	.set _ZL18solve_tri_f32_fastILi64ELi2EEvPKfS1_Pf15HIP_vector_typeIjLj3EEmmmmmmii.uses_flat_scratch, 0
	.set _ZL18solve_tri_f32_fastILi64ELi2EEvPKfS1_Pf15HIP_vector_typeIjLj3EEmmmmmmii.has_dyn_sized_stack, 0
	.set _ZL18solve_tri_f32_fastILi64ELi2EEvPKfS1_Pf15HIP_vector_typeIjLj3EEmmmmmmii.has_recursion, 0
	.set _ZL18solve_tri_f32_fastILi64ELi2EEvPKfS1_Pf15HIP_vector_typeIjLj3EEmmmmmmii.has_indirect_call, 0
	.section	.AMDGPU.csdata,"",@progbits
; Kernel info:
; codeLenInByte = 20372
; TotalNumSgprs: 78
; NumVgprs: 17
; ScratchSize: 0
; MemoryBound: 0
; FloatMode: 240
; IeeeMode: 1
; LDSByteSize: 16384 bytes/workgroup (compile time only)
; SGPRBlocks: 0
; VGPRBlocks: 1
; NumSGPRsForWavesPerEU: 78
; NumVGPRsForWavesPerEU: 17
; NamedBarCnt: 0
; Occupancy: 16
; WaveLimiterHint : 0
; COMPUTE_PGM_RSRC2:SCRATCH_EN: 0
; COMPUTE_PGM_RSRC2:USER_SGPR: 2
; COMPUTE_PGM_RSRC2:TRAP_HANDLER: 0
; COMPUTE_PGM_RSRC2:TGID_X_EN: 1
; COMPUTE_PGM_RSRC2:TGID_Y_EN: 0
; COMPUTE_PGM_RSRC2:TGID_Z_EN: 0
; COMPUTE_PGM_RSRC2:TIDIG_COMP_CNT: 1
	.section	.text._ZL18solve_tri_f32_fastILi64ELi1EEvPKfS1_Pf15HIP_vector_typeIjLj3EEmmmmmmii,"axG",@progbits,_ZL18solve_tri_f32_fastILi64ELi1EEvPKfS1_Pf15HIP_vector_typeIjLj3EEmmmmmmii,comdat
	.globl	_ZL18solve_tri_f32_fastILi64ELi1EEvPKfS1_Pf15HIP_vector_typeIjLj3EEmmmmmmii ; -- Begin function _ZL18solve_tri_f32_fastILi64ELi1EEvPKfS1_Pf15HIP_vector_typeIjLj3EEmmmmmmii
	.p2align	8
	.type	_ZL18solve_tri_f32_fastILi64ELi1EEvPKfS1_Pf15HIP_vector_typeIjLj3EEmmmmmmii,@function
_ZL18solve_tri_f32_fastILi64ELi1EEvPKfS1_Pf15HIP_vector_typeIjLj3EEmmmmmmii: ; @_ZL18solve_tri_f32_fastILi64ELi1EEvPKfS1_Pf15HIP_vector_typeIjLj3EEmmmmmmii
; %bb.0:
	v_bfe_u32 v1, v0, 10, 10
	s_mov_b32 s73, 0
	s_mov_b32 s2, exec_lo
	s_delay_alu instid0(VALU_DEP_1)
	v_cmpx_eq_u32_e32 0, v1
	s_cbranch_execz .LBB10_320
; %bb.1:
	s_clause 0x1
	s_load_b96 s[12:14], s[0:1], 0x18
	s_load_b64 s[2:3], s[0:1], 0x0
	s_bfe_u32 s15, ttmp6, 0x4000c
	s_load_b256 s[4:11], s[0:1], 0x28
	s_add_co_i32 s15, s15, 1
	s_and_b32 s16, ttmp6, 15
	s_mul_i32 s15, ttmp9, s15
	s_getreg_b32 s17, hwreg(HW_REG_IB_STS2, 6, 4)
	s_add_co_i32 s16, s16, s15
	s_cmp_eq_u32 s17, 0
	s_mov_b32 s75, s73
	s_cselect_b32 s15, ttmp9, s16
	v_and_b32_e32 v4, 0x3ff, v0
	s_delay_alu instid0(VALU_DEP_1) | instskip(SKIP_3) | instid1(VALU_DEP_2)
	v_lshlrev_b32_e32 v0, 2, v4
	v_cmp_gt_u32_e32 vcc_lo, 0x3e0, v4
	s_wait_kmcnt 0x0
	s_mul_hi_u32 s12, s12, s15
	v_add_nc_u32_e32 v42, 0x400, v0
	s_add_co_i32 s12, s15, s12
	s_delay_alu instid0(SALU_CYCLE_1) | instskip(NEXT) | instid1(SALU_CYCLE_1)
	s_lshr_b32 s74, s12, s13
	s_mul_i32 s12, s74, s14
	s_mul_u64 s[6:7], s[6:7], s[74:75]
	s_sub_co_i32 s72, s15, s12
	s_lshl_b64 s[6:7], s[6:7], 2
	s_mul_u64 s[4:5], s[4:5], s[72:73]
	s_delay_alu instid0(SALU_CYCLE_1) | instskip(NEXT) | instid1(SALU_CYCLE_1)
	s_lshl_b64 s[4:5], s[4:5], 2
	s_add_nc_u64 s[2:3], s[2:3], s[4:5]
	s_delay_alu instid0(SALU_CYCLE_1)
	s_add_nc_u64 s[2:3], s[2:3], s[6:7]
	s_clause 0x2f
	global_load_b32 v1, v4, s[2:3] offset:1024 scale_offset
	global_load_b32 v2, v4, s[2:3] offset:1152 scale_offset
	;; [unrolled: 1-line block ×40, first 2 shown]
	global_load_b32 v47, v4, s[2:3] scale_offset
	global_load_b32 v48, v4, s[2:3] offset:128 scale_offset
	global_load_b32 v49, v4, s[2:3] offset:256 scale_offset
	;; [unrolled: 1-line block ×7, first 2 shown]
	s_wait_loadcnt 0x2e
	ds_store_2addr_b32 v42, v1, v2 offset1:32
	s_wait_loadcnt 0x2c
	ds_store_2addr_b32 v42, v3, v5 offset0:64 offset1:96
	v_mov_b32_e32 v1, 0
	v_add_nc_u32_e32 v43, 0x800, v0
	v_add_nc_u32_e32 v44, 0xc00, v0
	v_add_nc_u32_e32 v45, 0x1000, v0
	v_add_nc_u32_e32 v46, 0x1400, v0
	s_clause 0x7
	global_load_b32 v5, v4, s[2:3] offset:6144 scale_offset
	global_load_b32 v55, v4, s[2:3] offset:6272 scale_offset
	;; [unrolled: 1-line block ×8, first 2 shown]
	s_wait_loadcnt 0x32
	ds_store_2addr_b32 v42, v6, v7 offset0:128 offset1:160
	s_wait_loadcnt 0x30
	ds_store_2addr_b32 v42, v8, v9 offset0:192 offset1:224
	s_wait_loadcnt 0x2e
	ds_store_2addr_b32 v43, v10, v11 offset1:32
	s_wait_loadcnt 0x2c
	ds_store_2addr_b32 v43, v12, v13 offset0:64 offset1:96
	s_clause 0x7
	global_load_b32 v6, v4, s[2:3] offset:7168 scale_offset
	global_load_b32 v7, v4, s[2:3] offset:7296 scale_offset
	;; [unrolled: 1-line block ×8, first 2 shown]
	v_add_nc_u64_e32 v[2:3], s[2:3], v[0:1]
	s_wait_loadcnt 0x32
	ds_store_2addr_b32 v43, v14, v15 offset0:128 offset1:160
	s_wait_loadcnt 0x30
	ds_store_2addr_b32 v43, v16, v17 offset0:192 offset1:224
	s_wait_loadcnt 0x2e
	ds_store_2addr_b32 v44, v18, v19 offset1:32
	s_clause 0x7
	global_load_b32 v14, v4, s[2:3] offset:8192 scale_offset
	global_load_b32 v15, v4, s[2:3] offset:8320 scale_offset
	;; [unrolled: 1-line block ×8, first 2 shown]
	s_wait_loadcnt 0x34
	ds_store_2addr_b32 v44, v20, v21 offset0:64 offset1:96
	s_wait_loadcnt 0x32
	ds_store_2addr_b32 v44, v22, v23 offset0:128 offset1:160
	;; [unrolled: 2-line block ×3, first 2 shown]
	s_wait_loadcnt 0x2e
	ds_store_2addr_b32 v45, v26, v27 offset1:32
	s_clause 0x7
	global_load_b32 v20, v4, s[2:3] offset:9216 scale_offset
	global_load_b32 v21, v4, s[2:3] offset:9344 scale_offset
	global_load_b32 v22, v4, s[2:3] offset:9472 scale_offset
	global_load_b32 v23, v4, s[2:3] offset:9600 scale_offset
	global_load_b32 v24, v4, s[2:3] offset:9728 scale_offset
	global_load_b32 v25, v4, s[2:3] offset:9856 scale_offset
	global_load_b32 v26, v4, s[2:3] offset:9984 scale_offset
	global_load_b32 v27, v4, s[2:3] offset:10112 scale_offset
	s_wait_loadcnt 0x34
	ds_store_2addr_b32 v45, v28, v29 offset0:64 offset1:96
	s_wait_loadcnt 0x32
	ds_store_2addr_b32 v45, v30, v31 offset0:128 offset1:160
	;; [unrolled: 2-line block ×3, first 2 shown]
	s_clause 0x7
	global_load_b32 v28, v4, s[2:3] offset:10240 scale_offset
	global_load_b32 v29, v4, s[2:3] offset:10368 scale_offset
	global_load_b32 v30, v4, s[2:3] offset:10496 scale_offset
	global_load_b32 v31, v4, s[2:3] offset:10624 scale_offset
	global_load_b32 v32, v4, s[2:3] offset:10752 scale_offset
	global_load_b32 v33, v4, s[2:3] offset:10880 scale_offset
	global_load_b32 v44, v4, s[2:3] offset:11008 scale_offset
	global_load_b32 v45, v4, s[2:3] offset:11136 scale_offset
	s_wait_loadcnt 0x36
	ds_store_2addr_b32 v46, v34, v35 offset1:32
	s_wait_loadcnt 0x34
	ds_store_2addr_b32 v46, v36, v37 offset0:64 offset1:96
	s_wait_loadcnt 0x32
	ds_store_2addr_b32 v46, v38, v39 offset0:128 offset1:160
	;; [unrolled: 2-line block ×3, first 2 shown]
	s_clause 0x8
	global_load_b32 v34, v4, s[2:3] offset:11264 scale_offset
	global_load_b32 v35, v4, s[2:3] offset:11392 scale_offset
	;; [unrolled: 1-line block ×9, first 2 shown]
	s_wait_loadcnt 0x37
	ds_store_2addr_b32 v0, v47, v48 offset1:32
	v_add_nc_u32_e32 v47, 0x1800, v0
	v_add_nc_u32_e32 v48, 0x1c00, v0
	s_wait_loadcnt 0x35
	ds_store_2addr_b32 v0, v49, v50 offset0:64 offset1:96
	v_add_nc_u32_e32 v49, 0x2000, v0
	v_add_nc_u32_e32 v50, 0x2400, v0
	s_wait_loadcnt 0x33
	ds_store_2addr_b32 v0, v51, v52 offset0:128 offset1:160
	;; [unrolled: 4-line block ×3, first 2 shown]
	s_wait_loadcnt 0x2f
	ds_store_2addr_b32 v47, v5, v55 offset1:32
	s_wait_loadcnt 0x2d
	ds_store_2addr_b32 v47, v56, v57 offset0:64 offset1:96
	s_wait_loadcnt 0x2b
	ds_store_2addr_b32 v47, v58, v59 offset0:128 offset1:160
	s_wait_loadcnt 0x29
	ds_store_2addr_b32 v47, v60, v61 offset0:192 offset1:224
	s_wait_loadcnt 0x27
	ds_store_2addr_b32 v48, v6, v7 offset1:32
	s_wait_loadcnt 0x25
	ds_store_2addr_b32 v48, v8, v9 offset0:64 offset1:96
	s_wait_loadcnt 0x23
	ds_store_2addr_b32 v48, v10, v11 offset0:128 offset1:160
	s_wait_loadcnt 0x21
	ds_store_2addr_b32 v48, v12, v13 offset0:192 offset1:224
	;; [unrolled: 8-line block ×6, first 2 shown]
	s_wait_loadcnt 0x0
	ds_store_b32 v0, v46 offset:12288
	s_and_saveexec_b32 s2, vcc_lo
	s_cbranch_execz .LBB10_3
; %bb.2:
	global_load_b32 v1, v[2:3], off offset:12416
	s_wait_loadcnt 0x0
	ds_store_b32 v0, v1 offset:12416
.LBB10_3:
	s_or_b32 exec_lo, exec_lo, s2
	s_delay_alu instid0(SALU_CYCLE_1)
	s_mov_b32 s2, exec_lo
	v_cmpx_gt_u32_e32 0x3c0, v4
	s_cbranch_execz .LBB10_5
; %bb.4:
	global_load_b32 v1, v[2:3], off offset:12544
	s_wait_loadcnt 0x0
	ds_store_b32 v0, v1 offset:12544
.LBB10_5:
	s_or_b32 exec_lo, exec_lo, s2
	s_delay_alu instid0(SALU_CYCLE_1)
	s_mov_b32 s2, exec_lo
	v_cmpx_gt_u32_e32 0x3a0, v4
	;; [unrolled: 10-line block ×27, first 2 shown]
	s_cbranch_execz .LBB10_57
; %bb.56:
	global_load_b32 v1, v[2:3], off offset:15872
	s_wait_loadcnt 0x0
	ds_store_b32 v0, v1 offset:15872
.LBB10_57:
	s_or_b32 exec_lo, exec_lo, s2
	s_load_b128 s[68:71], s[0:1], 0x48
	s_mov_b32 s2, exec_lo
	v_cmpx_gt_u32_e32 0x60, v4
	s_cbranch_execz .LBB10_59
; %bb.58:
	global_load_b32 v1, v[2:3], off offset:16000
	s_wait_loadcnt 0x0
	ds_store_b32 v0, v1 offset:16000
.LBB10_59:
	s_or_b32 exec_lo, exec_lo, s2
	v_cmp_gt_u32_e64 s2, 64, v4
	s_and_saveexec_b32 s3, s2
	s_cbranch_execz .LBB10_61
; %bb.60:
	global_load_b32 v1, v[2:3], off offset:16128
	s_wait_loadcnt 0x0
	ds_store_b32 v0, v1 offset:16128
.LBB10_61:
	s_or_b32 exec_lo, exec_lo, s3
	s_load_b64 s[4:5], s[0:1], 0x8
	v_cmp_gt_u32_e64 s3, 32, v4
	s_and_saveexec_b32 s6, s3
	s_cbranch_execz .LBB10_63
; %bb.62:
	global_load_b32 v1, v[2:3], off offset:16256
	s_wait_loadcnt 0x0
	ds_store_b32 v0, v1 offset:16256
.LBB10_63:
	s_or_b32 exec_lo, exec_lo, s6
	s_mul_u64 s[6:7], s[8:9], s[72:73]
	s_mul_u64 s[8:9], s[10:11], s[74:75]
	s_lshl_b64 s[6:7], s[6:7], 2
	v_dual_mov_b32 v8, 0 :: v_dual_mov_b32 v7, 0
	s_lshl_b64 s[8:9], s[8:9], 2
	s_wait_kmcnt 0x0
	s_add_nc_u64 s[4:5], s[4:5], s[6:7]
	s_wait_dscnt 0x0
	s_add_nc_u64 s[4:5], s[4:5], s[8:9]
	s_barrier_signal -1
	s_barrier_wait -1
	s_and_saveexec_b32 s6, s2
	s_cbranch_execnz .LBB10_321
; %bb.64:
	s_or_b32 exec_lo, exec_lo, s6
	s_and_saveexec_b32 s6, s3
	s_cbranch_execnz .LBB10_322
.LBB10_65:
	s_or_b32 exec_lo, exec_lo, s6
	v_cmp_eq_u32_e64 s4, 0, v4
	s_and_saveexec_b32 s5, s4
	s_cbranch_execnz .LBB10_323
.LBB10_66:
	s_or_b32 exec_lo, exec_lo, s5
	v_mov_b32_e32 v3, 0
	s_and_saveexec_b32 s5, s4
	s_cbranch_execz .LBB10_68
.LBB10_67:
	ds_load_b32 v1, v0 offset:256
	s_wait_loadcnt_dscnt 0x0
	v_fma_f32 v3, v7, v1, 0
.LBB10_68:
	s_or_b32 exec_lo, exec_lo, s5
	v_mbcnt_lo_u32_b32 v6, -1, 0
	v_cmp_eq_u32_e64 s37, 1, v4
	s_delay_alu instid0(VALU_DEP_2) | instskip(SKIP_2) | instid1(VALU_DEP_3)
	v_xor_b32_e32 v1, 16, v6
	v_xor_b32_e32 v2, 8, v6
	;; [unrolled: 1-line block ×3, first 2 shown]
	v_cmp_gt_i32_e32 vcc_lo, 32, v1
	v_cndmask_b32_e32 v1, v6, v1, vcc_lo
	s_delay_alu instid0(VALU_DEP_4) | instskip(NEXT) | instid1(VALU_DEP_2)
	v_cmp_gt_i32_e32 vcc_lo, 32, v2
	v_dual_cndmask_b32 v2, v6, v2 :: v_dual_lshlrev_b32 v1, 2, v1
	ds_bpermute_b32 v5, v1, v3
	s_wait_dscnt 0x0
	v_dual_add_f32 v5, v3, v5 :: v_dual_bitop2_b32 v3, 4, v6 bitop3:0x14
	s_delay_alu instid0(VALU_DEP_1)
	v_cmp_gt_i32_e32 vcc_lo, 32, v3
	v_dual_cndmask_b32 v3, v6, v3 :: v_dual_lshlrev_b32 v2, 2, v2
	ds_bpermute_b32 v9, v2, v5
	s_wait_dscnt 0x0
	v_dual_lshlrev_b32 v3, 2, v3 :: v_dual_add_f32 v9, v5, v9
	v_xor_b32_e32 v5, 2, v6
	ds_bpermute_b32 v10, v3, v9
	v_cmp_gt_i32_e32 vcc_lo, 32, v5
	v_cndmask_b32_e32 v5, v6, v5, vcc_lo
	v_cmp_gt_i32_e32 vcc_lo, 32, v11
	s_wait_dscnt 0x0
	s_delay_alu instid0(VALU_DEP_2) | instskip(SKIP_3) | instid1(VALU_DEP_1)
	v_dual_add_f32 v9, v9, v10 :: v_dual_lshlrev_b32 v5, 2, v5
	ds_bpermute_b32 v10, v5, v9
	s_wait_dscnt 0x0
	v_dual_cndmask_b32 v6, v6, v11 :: v_dual_add_f32 v9, v9, v10
	v_lshlrev_b32_e32 v6, 2, v6
	ds_bpermute_b32 v10, v6, v9
	s_and_saveexec_b32 s5, s37
	s_cbranch_execz .LBB10_70
; %bb.69:
	s_wait_dscnt 0x0
	v_dual_mov_b32 v11, 0 :: v_dual_add_f32 v9, v9, v10
	ds_load_b32 v11, v11 offset:260
	s_wait_loadcnt 0x0
	v_sub_f32_e32 v7, v7, v9
	s_wait_dscnt 0x0
	s_delay_alu instid0(VALU_DEP_1) | instskip(NEXT) | instid1(VALU_DEP_1)
	v_div_scale_f32 v9, null, v11, v11, v7
	v_rcp_f32_e32 v10, v9
	v_nop
	s_delay_alu instid0(TRANS32_DEP_1) | instskip(NEXT) | instid1(VALU_DEP_1)
	v_fma_f32 v12, -v9, v10, 1.0
	v_fmac_f32_e32 v10, v12, v10
	v_div_scale_f32 v12, vcc_lo, v7, v11, v7
	s_delay_alu instid0(VALU_DEP_1) | instskip(NEXT) | instid1(VALU_DEP_1)
	v_mul_f32_e32 v13, v12, v10
	v_fma_f32 v14, -v9, v13, v12
	s_delay_alu instid0(VALU_DEP_1) | instskip(NEXT) | instid1(VALU_DEP_1)
	v_fmac_f32_e32 v13, v14, v10
	v_fma_f32 v9, -v9, v13, v12
	s_delay_alu instid0(VALU_DEP_1) | instskip(NEXT) | instid1(VALU_DEP_1)
	v_div_fmas_f32 v9, v9, v10, v13
	v_div_fixup_f32 v7, v9, v11, v7
.LBB10_70:
	s_or_b32 exec_lo, exec_lo, s5
	v_cmp_gt_u32_e64 s6, 2, v4
	v_mov_b32_e32 v9, 0
	s_and_saveexec_b32 s5, s6
	s_cbranch_execz .LBB10_72
; %bb.71:
	ds_load_b32 v9, v0 offset:512
	s_wait_loadcnt_dscnt 0x0
	v_fma_f32 v9, v7, v9, 0
.LBB10_72:
	s_or_b32 exec_lo, exec_lo, s5
	s_wait_dscnt 0x0
	ds_bpermute_b32 v10, v1, v9
	v_cmp_eq_u32_e64 s38, 2, v4
	s_wait_dscnt 0x0
	v_add_f32_e32 v9, v9, v10
	ds_bpermute_b32 v10, v2, v9
	s_wait_dscnt 0x0
	v_add_f32_e32 v9, v9, v10
	ds_bpermute_b32 v10, v3, v9
	s_wait_dscnt 0x0
	v_add_f32_e32 v9, v9, v10
	ds_bpermute_b32 v10, v5, v9
	s_wait_dscnt 0x0
	v_add_f32_e32 v9, v9, v10
	ds_bpermute_b32 v10, v6, v9
	s_and_saveexec_b32 s5, s38
	s_cbranch_execz .LBB10_74
; %bb.73:
	s_wait_dscnt 0x0
	v_dual_mov_b32 v11, 0 :: v_dual_add_f32 v9, v9, v10
	ds_load_b32 v11, v11 offset:520
	s_wait_loadcnt 0x0
	v_sub_f32_e32 v7, v7, v9
	s_wait_dscnt 0x0
	s_delay_alu instid0(VALU_DEP_1) | instskip(NEXT) | instid1(VALU_DEP_1)
	v_div_scale_f32 v9, null, v11, v11, v7
	v_rcp_f32_e32 v10, v9
	v_nop
	s_delay_alu instid0(TRANS32_DEP_1) | instskip(NEXT) | instid1(VALU_DEP_1)
	v_fma_f32 v12, -v9, v10, 1.0
	v_fmac_f32_e32 v10, v12, v10
	v_div_scale_f32 v12, vcc_lo, v7, v11, v7
	s_delay_alu instid0(VALU_DEP_1) | instskip(NEXT) | instid1(VALU_DEP_1)
	v_mul_f32_e32 v13, v12, v10
	v_fma_f32 v14, -v9, v13, v12
	s_delay_alu instid0(VALU_DEP_1) | instskip(NEXT) | instid1(VALU_DEP_1)
	v_fmac_f32_e32 v13, v14, v10
	v_fma_f32 v9, -v9, v13, v12
	s_delay_alu instid0(VALU_DEP_1) | instskip(NEXT) | instid1(VALU_DEP_1)
	v_div_fmas_f32 v9, v9, v10, v13
	v_div_fixup_f32 v7, v9, v11, v7
.LBB10_74:
	s_or_b32 exec_lo, exec_lo, s5
	v_cmp_gt_u32_e64 s7, 3, v4
	v_mov_b32_e32 v9, 0
	s_and_saveexec_b32 s5, s7
	s_cbranch_execz .LBB10_76
; %bb.75:
	ds_load_b32 v9, v0 offset:768
	s_wait_loadcnt_dscnt 0x0
	v_fma_f32 v9, v7, v9, 0
.LBB10_76:
	s_or_b32 exec_lo, exec_lo, s5
	s_wait_dscnt 0x0
	ds_bpermute_b32 v10, v1, v9
	v_cmp_eq_u32_e64 s39, 3, v4
	s_wait_dscnt 0x0
	v_add_f32_e32 v9, v9, v10
	ds_bpermute_b32 v10, v2, v9
	s_wait_dscnt 0x0
	v_add_f32_e32 v9, v9, v10
	ds_bpermute_b32 v10, v3, v9
	s_wait_dscnt 0x0
	v_add_f32_e32 v9, v9, v10
	ds_bpermute_b32 v10, v5, v9
	s_wait_dscnt 0x0
	v_add_f32_e32 v9, v9, v10
	;; [unrolled: 53-line block ×30, first 2 shown]
	ds_bpermute_b32 v10, v6, v9
	s_and_saveexec_b32 s67, s5
	s_cbranch_execz .LBB10_190
; %bb.189:
	s_wait_dscnt 0x0
	v_dual_mov_b32 v11, 0 :: v_dual_add_f32 v9, v9, v10
	ds_load_b32 v11, v11 offset:8060
	s_wait_loadcnt 0x0
	v_sub_f32_e32 v7, v7, v9
	s_wait_dscnt 0x0
	s_delay_alu instid0(VALU_DEP_1) | instskip(NEXT) | instid1(VALU_DEP_1)
	v_div_scale_f32 v9, null, v11, v11, v7
	v_rcp_f32_e32 v10, v9
	v_nop
	s_delay_alu instid0(TRANS32_DEP_1) | instskip(NEXT) | instid1(VALU_DEP_1)
	v_fma_f32 v12, -v9, v10, 1.0
	v_fmac_f32_e32 v10, v12, v10
	v_div_scale_f32 v12, vcc_lo, v7, v11, v7
	s_delay_alu instid0(VALU_DEP_1) | instskip(NEXT) | instid1(VALU_DEP_1)
	v_mul_f32_e32 v13, v12, v10
	v_fma_f32 v14, -v9, v13, v12
	s_delay_alu instid0(VALU_DEP_1) | instskip(NEXT) | instid1(VALU_DEP_1)
	v_fmac_f32_e32 v13, v14, v10
	v_fma_f32 v9, -v9, v13, v12
	s_delay_alu instid0(VALU_DEP_1) | instskip(NEXT) | instid1(VALU_DEP_1)
	v_div_fmas_f32 v9, v9, v10, v13
	v_div_fixup_f32 v7, v9, v11, v7
.LBB10_190:
	s_or_b32 exec_lo, exec_lo, s67
	ds_load_b32 v9, v0 offset:8192
	s_wait_loadcnt_dscnt 0x0
	v_mul_f32_e32 v10, v7, v9
	ds_bpermute_b32 v10, v1, v10
	s_wait_dscnt 0x0
	v_fmac_f32_e32 v10, v7, v9
	ds_bpermute_b32 v9, v2, v10
	s_wait_dscnt 0x0
	v_add_f32_e32 v9, v10, v9
	ds_bpermute_b32 v10, v3, v9
	s_wait_dscnt 0x0
	v_add_f32_e32 v9, v9, v10
	ds_bpermute_b32 v10, v5, v9
	s_wait_dscnt 0x0
	v_add_f32_e32 v9, v9, v10
	ds_bpermute_b32 v10, v6, v9
	s_and_saveexec_b32 s67, s4
	s_cbranch_execz .LBB10_192
; %bb.191:
	s_wait_dscnt 0x0
	v_dual_mov_b32 v11, 0 :: v_dual_add_f32 v9, v9, v10
	ds_load_b32 v11, v11 offset:8320
	v_sub_f32_e32 v8, v8, v9
	s_wait_dscnt 0x0
	s_delay_alu instid0(VALU_DEP_1) | instskip(NEXT) | instid1(VALU_DEP_1)
	v_div_scale_f32 v9, null, v11, v11, v8
	v_rcp_f32_e32 v10, v9
	v_nop
	s_delay_alu instid0(TRANS32_DEP_1) | instskip(NEXT) | instid1(VALU_DEP_1)
	v_fma_f32 v12, -v9, v10, 1.0
	v_fmac_f32_e32 v10, v12, v10
	v_div_scale_f32 v12, vcc_lo, v8, v11, v8
	s_delay_alu instid0(VALU_DEP_1) | instskip(NEXT) | instid1(VALU_DEP_1)
	v_mul_f32_e32 v13, v12, v10
	v_fma_f32 v14, -v9, v13, v12
	s_delay_alu instid0(VALU_DEP_1) | instskip(NEXT) | instid1(VALU_DEP_1)
	v_fmac_f32_e32 v13, v14, v10
	v_fma_f32 v9, -v9, v13, v12
	s_delay_alu instid0(VALU_DEP_1) | instskip(NEXT) | instid1(VALU_DEP_1)
	v_div_fmas_f32 v9, v9, v10, v13
	v_div_fixup_f32 v8, v9, v11, v8
.LBB10_192:
	s_or_b32 exec_lo, exec_lo, s67
	ds_load_b32 v9, v0 offset:8448
	s_wait_dscnt 0x0
	v_mul_f32_e32 v9, v7, v9
	s_and_saveexec_b32 s67, s4
	s_cbranch_execz .LBB10_194
; %bb.193:
	ds_load_b32 v10, v0 offset:8576
	s_wait_dscnt 0x0
	v_fmac_f32_e32 v9, v8, v10
.LBB10_194:
	s_or_b32 exec_lo, exec_lo, s67
	ds_bpermute_b32 v10, v1, v9
	s_wait_dscnt 0x0
	v_add_f32_e32 v9, v9, v10
	ds_bpermute_b32 v10, v2, v9
	s_wait_dscnt 0x0
	v_add_f32_e32 v9, v9, v10
	ds_bpermute_b32 v10, v3, v9
	s_wait_dscnt 0x0
	v_add_f32_e32 v9, v9, v10
	ds_bpermute_b32 v10, v5, v9
	s_wait_dscnt 0x0
	v_add_f32_e32 v9, v9, v10
	ds_bpermute_b32 v10, v6, v9
	s_and_saveexec_b32 s4, s37
	s_cbranch_execz .LBB10_196
; %bb.195:
	s_wait_dscnt 0x0
	v_dual_mov_b32 v11, 0 :: v_dual_add_f32 v9, v9, v10
	ds_load_b32 v11, v11 offset:8580
	v_sub_f32_e32 v8, v8, v9
	s_wait_dscnt 0x0
	s_delay_alu instid0(VALU_DEP_1) | instskip(NEXT) | instid1(VALU_DEP_1)
	v_div_scale_f32 v9, null, v11, v11, v8
	v_rcp_f32_e32 v10, v9
	v_nop
	s_delay_alu instid0(TRANS32_DEP_1) | instskip(NEXT) | instid1(VALU_DEP_1)
	v_fma_f32 v12, -v9, v10, 1.0
	v_fmac_f32_e32 v10, v12, v10
	v_div_scale_f32 v12, vcc_lo, v8, v11, v8
	s_delay_alu instid0(VALU_DEP_1) | instskip(NEXT) | instid1(VALU_DEP_1)
	v_mul_f32_e32 v13, v12, v10
	v_fma_f32 v14, -v9, v13, v12
	s_delay_alu instid0(VALU_DEP_1) | instskip(NEXT) | instid1(VALU_DEP_1)
	v_fmac_f32_e32 v13, v14, v10
	v_fma_f32 v9, -v9, v13, v12
	s_delay_alu instid0(VALU_DEP_1) | instskip(NEXT) | instid1(VALU_DEP_1)
	v_div_fmas_f32 v9, v9, v10, v13
	v_div_fixup_f32 v8, v9, v11, v8
.LBB10_196:
	s_or_b32 exec_lo, exec_lo, s4
	ds_load_b32 v9, v0 offset:8704
	s_wait_dscnt 0x0
	v_mul_f32_e32 v9, v7, v9
	s_and_saveexec_b32 s4, s6
	s_cbranch_execz .LBB10_198
; %bb.197:
	ds_load_b32 v10, v0 offset:8832
	s_wait_dscnt 0x0
	v_fmac_f32_e32 v9, v8, v10
.LBB10_198:
	s_or_b32 exec_lo, exec_lo, s4
	ds_bpermute_b32 v10, v1, v9
	s_wait_dscnt 0x0
	v_add_f32_e32 v9, v9, v10
	;; [unrolled: 51-line block ×30, first 2 shown]
	ds_bpermute_b32 v10, v2, v9
	s_wait_dscnt 0x0
	v_add_f32_e32 v9, v9, v10
	ds_bpermute_b32 v10, v3, v9
	s_wait_dscnt 0x0
	v_add_f32_e32 v9, v9, v10
	;; [unrolled: 3-line block ×3, first 2 shown]
	ds_bpermute_b32 v10, v6, v9
	s_and_saveexec_b32 s4, s66
	s_cbranch_execz .LBB10_312
; %bb.311:
	s_wait_dscnt 0x0
	v_dual_mov_b32 v11, 0 :: v_dual_add_f32 v9, v9, v10
	ds_load_b32 v11, v11 offset:16120
	v_sub_f32_e32 v8, v8, v9
	s_wait_dscnt 0x0
	s_delay_alu instid0(VALU_DEP_1) | instskip(NEXT) | instid1(VALU_DEP_1)
	v_div_scale_f32 v9, null, v11, v11, v8
	v_rcp_f32_e32 v10, v9
	v_nop
	s_delay_alu instid0(TRANS32_DEP_1) | instskip(NEXT) | instid1(VALU_DEP_1)
	v_fma_f32 v12, -v9, v10, 1.0
	v_fmac_f32_e32 v10, v12, v10
	v_div_scale_f32 v12, vcc_lo, v8, v11, v8
	s_delay_alu instid0(VALU_DEP_1) | instskip(NEXT) | instid1(VALU_DEP_1)
	v_mul_f32_e32 v13, v12, v10
	v_fma_f32 v14, -v9, v13, v12
	s_delay_alu instid0(VALU_DEP_1) | instskip(NEXT) | instid1(VALU_DEP_1)
	v_fmac_f32_e32 v13, v14, v10
	v_fma_f32 v9, -v9, v13, v12
	s_delay_alu instid0(VALU_DEP_1) | instskip(NEXT) | instid1(VALU_DEP_1)
	v_div_fmas_f32 v9, v9, v10, v13
	v_div_fixup_f32 v8, v9, v11, v8
.LBB10_312:
	s_or_b32 exec_lo, exec_lo, s4
	ds_load_b32 v9, v0 offset:16128
	s_wait_dscnt 0x0
	v_mul_f32_e32 v9, v7, v9
	s_and_saveexec_b32 s4, s36
	s_cbranch_execz .LBB10_314
; %bb.313:
	ds_load_b32 v0, v0 offset:16256
	s_wait_dscnt 0x0
	v_fmac_f32_e32 v9, v8, v0
.LBB10_314:
	s_or_b32 exec_lo, exec_lo, s4
	ds_bpermute_b32 v0, v1, v9
	s_load_b64 s[0:1], s[0:1], 0x10
	s_wait_dscnt 0x0
	v_add_f32_e32 v0, v9, v0
	ds_bpermute_b32 v1, v2, v0
	s_wait_dscnt 0x0
	v_add_f32_e32 v0, v0, v1
	ds_bpermute_b32 v1, v3, v0
	;; [unrolled: 3-line block ×4, first 2 shown]
	s_and_saveexec_b32 s4, s5
	s_cbranch_execz .LBB10_316
; %bb.315:
	s_wait_dscnt 0x0
	v_dual_mov_b32 v2, 0 :: v_dual_add_f32 v0, v0, v1
	ds_load_b32 v2, v2 offset:16380
	v_sub_f32_e32 v0, v8, v0
	s_wait_dscnt 0x0
	s_delay_alu instid0(VALU_DEP_1) | instskip(NEXT) | instid1(VALU_DEP_1)
	v_div_scale_f32 v1, null, v2, v2, v0
	v_rcp_f32_e32 v3, v1
	v_nop
	s_delay_alu instid0(TRANS32_DEP_1) | instskip(NEXT) | instid1(VALU_DEP_1)
	v_fma_f32 v5, -v1, v3, 1.0
	v_fmac_f32_e32 v3, v5, v3
	v_div_scale_f32 v5, vcc_lo, v0, v2, v0
	s_delay_alu instid0(VALU_DEP_1) | instskip(NEXT) | instid1(VALU_DEP_1)
	v_mul_f32_e32 v6, v5, v3
	v_fma_f32 v8, -v1, v6, v5
	s_delay_alu instid0(VALU_DEP_1) | instskip(NEXT) | instid1(VALU_DEP_1)
	v_fmac_f32_e32 v6, v8, v3
	v_fma_f32 v1, -v1, v6, v5
	s_delay_alu instid0(VALU_DEP_1) | instskip(NEXT) | instid1(VALU_DEP_1)
	v_div_fmas_f32 v1, v1, v3, v6
	v_div_fixup_f32 v8, v1, v2, v0
.LBB10_316:
	s_or_b32 exec_lo, exec_lo, s4
	s_mul_u64 s[4:5], s[68:69], s[72:73]
	s_mul_u64 s[6:7], s[70:71], s[74:75]
	s_lshl_b64 s[4:5], s[4:5], 2
	s_wait_kmcnt 0x0
	s_add_nc_u64 s[0:1], s[0:1], s[4:5]
	s_lshl_b64 s[4:5], s[6:7], 2
	s_delay_alu instid0(SALU_CYCLE_1)
	s_add_nc_u64 s[0:1], s[0:1], s[4:5]
	s_and_saveexec_b32 s4, s2
	s_cbranch_execz .LBB10_318
; %bb.317:
	v_cndmask_b32_e64 v0, v8, v7, s3
	global_store_b32 v4, v0, s[0:1] scale_offset
.LBB10_318:
	s_wait_xcnt 0x0
	s_or_b32 exec_lo, exec_lo, s4
	s_delay_alu instid0(SALU_CYCLE_1)
	s_and_b32 exec_lo, exec_lo, s3
	s_cbranch_execz .LBB10_320
; %bb.319:
	global_store_b32 v4, v8, s[0:1] offset:128 scale_offset
.LBB10_320:
	s_endpgm
.LBB10_321:
	global_load_b32 v7, v4, s[4:5] scale_offset
	s_wait_xcnt 0x0
	s_or_b32 exec_lo, exec_lo, s6
	s_and_saveexec_b32 s6, s3
	s_cbranch_execz .LBB10_65
.LBB10_322:
	global_load_b32 v8, v4, s[4:5] offset:128 scale_offset
	s_wait_xcnt 0x0
	s_or_b32 exec_lo, exec_lo, s6
	v_cmp_eq_u32_e64 s4, 0, v4
	s_and_saveexec_b32 s5, s4
	s_cbranch_execz .LBB10_66
.LBB10_323:
	v_mov_b32_e32 v1, 0
	ds_load_b32 v1, v1
	s_wait_loadcnt_dscnt 0x0
	v_div_scale_f32 v2, null, v1, v1, v7
	s_delay_alu instid0(VALU_DEP_1) | instskip(SKIP_1) | instid1(TRANS32_DEP_1)
	v_rcp_f32_e32 v3, v2
	v_nop
	v_fma_f32 v5, -v2, v3, 1.0
	s_delay_alu instid0(VALU_DEP_1) | instskip(SKIP_1) | instid1(VALU_DEP_1)
	v_fmac_f32_e32 v3, v5, v3
	v_div_scale_f32 v5, vcc_lo, v7, v1, v7
	v_mul_f32_e32 v6, v5, v3
	s_delay_alu instid0(VALU_DEP_1) | instskip(NEXT) | instid1(VALU_DEP_1)
	v_fma_f32 v9, -v2, v6, v5
	v_fmac_f32_e32 v6, v9, v3
	s_delay_alu instid0(VALU_DEP_1) | instskip(NEXT) | instid1(VALU_DEP_1)
	v_fma_f32 v2, -v2, v6, v5
	v_div_fmas_f32 v2, v2, v3, v6
	s_delay_alu instid0(VALU_DEP_1)
	v_div_fixup_f32 v7, v2, v1, v7
	s_or_b32 exec_lo, exec_lo, s5
	v_mov_b32_e32 v3, 0
	s_and_saveexec_b32 s5, s4
	s_cbranch_execnz .LBB10_67
	s_branch .LBB10_68
	.section	.rodata,"a",@progbits
	.p2align	6, 0x0
	.amdhsa_kernel _ZL18solve_tri_f32_fastILi64ELi1EEvPKfS1_Pf15HIP_vector_typeIjLj3EEmmmmmmii
		.amdhsa_group_segment_fixed_size 16384
		.amdhsa_private_segment_fixed_size 0
		.amdhsa_kernarg_size 96
		.amdhsa_user_sgpr_count 2
		.amdhsa_user_sgpr_dispatch_ptr 0
		.amdhsa_user_sgpr_queue_ptr 0
		.amdhsa_user_sgpr_kernarg_segment_ptr 1
		.amdhsa_user_sgpr_dispatch_id 0
		.amdhsa_user_sgpr_kernarg_preload_length 0
		.amdhsa_user_sgpr_kernarg_preload_offset 0
		.amdhsa_user_sgpr_private_segment_size 0
		.amdhsa_wavefront_size32 1
		.amdhsa_uses_dynamic_stack 0
		.amdhsa_enable_private_segment 0
		.amdhsa_system_sgpr_workgroup_id_x 1
		.amdhsa_system_sgpr_workgroup_id_y 0
		.amdhsa_system_sgpr_workgroup_id_z 0
		.amdhsa_system_sgpr_workgroup_info 0
		.amdhsa_system_vgpr_workitem_id 1
		.amdhsa_next_free_vgpr 62
		.amdhsa_next_free_sgpr 76
		.amdhsa_named_barrier_count 0
		.amdhsa_reserve_vcc 1
		.amdhsa_float_round_mode_32 0
		.amdhsa_float_round_mode_16_64 0
		.amdhsa_float_denorm_mode_32 3
		.amdhsa_float_denorm_mode_16_64 3
		.amdhsa_fp16_overflow 0
		.amdhsa_memory_ordered 1
		.amdhsa_forward_progress 1
		.amdhsa_inst_pref_size 162
		.amdhsa_round_robin_scheduling 0
		.amdhsa_exception_fp_ieee_invalid_op 0
		.amdhsa_exception_fp_denorm_src 0
		.amdhsa_exception_fp_ieee_div_zero 0
		.amdhsa_exception_fp_ieee_overflow 0
		.amdhsa_exception_fp_ieee_underflow 0
		.amdhsa_exception_fp_ieee_inexact 0
		.amdhsa_exception_int_div_zero 0
	.end_amdhsa_kernel
	.section	.text._ZL18solve_tri_f32_fastILi64ELi1EEvPKfS1_Pf15HIP_vector_typeIjLj3EEmmmmmmii,"axG",@progbits,_ZL18solve_tri_f32_fastILi64ELi1EEvPKfS1_Pf15HIP_vector_typeIjLj3EEmmmmmmii,comdat
.Lfunc_end10:
	.size	_ZL18solve_tri_f32_fastILi64ELi1EEvPKfS1_Pf15HIP_vector_typeIjLj3EEmmmmmmii, .Lfunc_end10-_ZL18solve_tri_f32_fastILi64ELi1EEvPKfS1_Pf15HIP_vector_typeIjLj3EEmmmmmmii
                                        ; -- End function
	.set _ZL18solve_tri_f32_fastILi64ELi1EEvPKfS1_Pf15HIP_vector_typeIjLj3EEmmmmmmii.num_vgpr, 62
	.set _ZL18solve_tri_f32_fastILi64ELi1EEvPKfS1_Pf15HIP_vector_typeIjLj3EEmmmmmmii.num_agpr, 0
	.set _ZL18solve_tri_f32_fastILi64ELi1EEvPKfS1_Pf15HIP_vector_typeIjLj3EEmmmmmmii.numbered_sgpr, 76
	.set _ZL18solve_tri_f32_fastILi64ELi1EEvPKfS1_Pf15HIP_vector_typeIjLj3EEmmmmmmii.num_named_barrier, 0
	.set _ZL18solve_tri_f32_fastILi64ELi1EEvPKfS1_Pf15HIP_vector_typeIjLj3EEmmmmmmii.private_seg_size, 0
	.set _ZL18solve_tri_f32_fastILi64ELi1EEvPKfS1_Pf15HIP_vector_typeIjLj3EEmmmmmmii.uses_vcc, 1
	.set _ZL18solve_tri_f32_fastILi64ELi1EEvPKfS1_Pf15HIP_vector_typeIjLj3EEmmmmmmii.uses_flat_scratch, 0
	.set _ZL18solve_tri_f32_fastILi64ELi1EEvPKfS1_Pf15HIP_vector_typeIjLj3EEmmmmmmii.has_dyn_sized_stack, 0
	.set _ZL18solve_tri_f32_fastILi64ELi1EEvPKfS1_Pf15HIP_vector_typeIjLj3EEmmmmmmii.has_recursion, 0
	.set _ZL18solve_tri_f32_fastILi64ELi1EEvPKfS1_Pf15HIP_vector_typeIjLj3EEmmmmmmii.has_indirect_call, 0
	.section	.AMDGPU.csdata,"",@progbits
; Kernel info:
; codeLenInByte = 20628
; TotalNumSgprs: 78
; NumVgprs: 62
; ScratchSize: 0
; MemoryBound: 0
; FloatMode: 240
; IeeeMode: 1
; LDSByteSize: 16384 bytes/workgroup (compile time only)
; SGPRBlocks: 0
; VGPRBlocks: 3
; NumSGPRsForWavesPerEU: 78
; NumVGPRsForWavesPerEU: 62
; NamedBarCnt: 0
; Occupancy: 16
; WaveLimiterHint : 1
; COMPUTE_PGM_RSRC2:SCRATCH_EN: 0
; COMPUTE_PGM_RSRC2:USER_SGPR: 2
; COMPUTE_PGM_RSRC2:TRAP_HANDLER: 0
; COMPUTE_PGM_RSRC2:TGID_X_EN: 1
; COMPUTE_PGM_RSRC2:TGID_Y_EN: 0
; COMPUTE_PGM_RSRC2:TGID_Z_EN: 0
; COMPUTE_PGM_RSRC2:TIDIG_COMP_CNT: 1
	.section	.text._ZL18solve_tri_f32_fastILi0ELi0EEvPKfS1_Pf15HIP_vector_typeIjLj3EEmmmmmmii,"axG",@progbits,_ZL18solve_tri_f32_fastILi0ELi0EEvPKfS1_Pf15HIP_vector_typeIjLj3EEmmmmmmii,comdat
	.globl	_ZL18solve_tri_f32_fastILi0ELi0EEvPKfS1_Pf15HIP_vector_typeIjLj3EEmmmmmmii ; -- Begin function _ZL18solve_tri_f32_fastILi0ELi0EEvPKfS1_Pf15HIP_vector_typeIjLj3EEmmmmmmii
	.p2align	8
	.type	_ZL18solve_tri_f32_fastILi0ELi0EEvPKfS1_Pf15HIP_vector_typeIjLj3EEmmmmmmii,@function
_ZL18solve_tri_f32_fastILi0ELi0EEvPKfS1_Pf15HIP_vector_typeIjLj3EEmmmmmmii: ; @_ZL18solve_tri_f32_fastILi0ELi0EEvPKfS1_Pf15HIP_vector_typeIjLj3EEmmmmmmii
; %bb.0:
	s_load_b64 s[16:17], s[0:1], 0x58
	v_bfe_u32 v1, v0, 10, 10
	s_mov_b32 s2, exec_lo
	s_wait_kmcnt 0x0
	s_delay_alu instid0(VALU_DEP_1)
	v_cmpx_gt_i32_e64 s17, v1
	s_cbranch_execz .LBB11_28
; %bb.1:
	s_clause 0x2
	s_load_b96 s[20:22], s[0:1], 0x18
	s_load_b64 s[2:3], s[0:1], 0x8
	s_load_b256 s[4:11], s[0:1], 0x28
	s_bfe_u32 s18, ttmp6, 0x4000c
	s_load_b128 s[12:15], s[0:1], 0x48
	s_add_co_i32 s18, s18, 1
	s_and_b32 s19, ttmp6, 15
	s_mul_i32 s18, ttmp9, s18
	s_getreg_b32 s23, hwreg(HW_REG_IB_STS2, 6, 4)
	s_add_co_i32 s19, s19, s18
	s_cmp_eq_u32 s23, 0
	v_and_b32_e32 v0, 0x3ff, v0
	s_cselect_b32 s19, ttmp9, s19
	s_wait_kmcnt 0x0
	s_mul_hi_u32 s18, s20, s19
	s_delay_alu instid0(SALU_CYCLE_1) | instskip(NEXT) | instid1(SALU_CYCLE_1)
	s_add_co_i32 s18, s19, s18
	s_lshr_b32 s18, s18, s21
	s_mov_b32 s21, 0
	s_mul_i32 s20, s18, s22
	s_delay_alu instid0(SALU_CYCLE_1)
	s_sub_co_i32 s20, s19, s20
	s_cmp_eq_u32 s16, 0
	s_mov_b32 s19, s21
	s_cbranch_scc1 .LBB11_6
; %bb.2:
	s_clause 0x1
	s_load_b64 s[22:23], s[0:1], 0x0
	s_load_b32 s24, s[0:1], 0x6c
	s_mul_u64 s[4:5], s[4:5], s[20:21]
	s_mul_u64 s[6:7], s[6:7], s[18:19]
	s_lshl_b64 s[4:5], s[4:5], 2
	s_lshl_b64 s[6:7], s[6:7], 2
	s_wait_kmcnt 0x0
	s_add_nc_u64 s[4:5], s[22:23], s[4:5]
	s_and_b32 s22, s24, 0xffff
	s_add_nc_u64 s[4:5], s[4:5], s[6:7]
	v_mad_u32_u24 v2, v1, s22, v0
	s_mul_i32 s6, s16, s16
	s_lshl_b32 s7, s17, 5
	s_lshl_b32 s22, s17, 7
	s_mov_b32 s23, s21
	v_lshlrev_b32_e32 v3, 2, v2
	s_branch .LBB11_4
.LBB11_3:                               ;   in Loop: Header=BB11_4 Depth=1
	s_wait_xcnt 0x0
	s_or_b32 exec_lo, exec_lo, s24
	v_add_nc_u32_e32 v3, s22, v3
	s_add_co_i32 s23, s23, s7
	s_delay_alu instid0(SALU_CYCLE_1)
	s_cmp_ge_i32 s23, s6
	s_cbranch_scc1 .LBB11_6
.LBB11_4:                               ; =>This Inner Loop Header: Depth=1
	v_add_nc_u32_e32 v4, s23, v2
	s_mov_b32 s24, exec_lo
	s_delay_alu instid0(VALU_DEP_1)
	v_cmpx_gt_i32_e64 s6, v4
	s_cbranch_execz .LBB11_3
; %bb.5:                                ;   in Loop: Header=BB11_4 Depth=1
	global_load_b32 v4, v4, s[4:5] scale_offset
	s_wait_loadcnt 0x0
	ds_store_b32 v3, v4
	s_branch .LBB11_3
.LBB11_6:
	s_mul_u64 s[4:5], s[8:9], s[20:21]
	s_mul_u64 s[6:7], s[10:11], s[18:19]
	s_lshl_b64 s[4:5], s[4:5], 2
	v_dual_mov_b32 v2, 0 :: v_dual_mov_b32 v4, 0
	s_add_nc_u64 s[4:5], s[2:3], s[4:5]
	v_cmp_gt_i32_e64 s2, s16, v0
	s_lshl_b64 s[6:7], s[6:7], 2
	s_wait_dscnt 0x0
	s_add_nc_u64 s[4:5], s[4:5], s[6:7]
	s_barrier_signal -1
	s_barrier_wait -1
	s_and_saveexec_b32 s3, s2
	s_cbranch_execz .LBB11_8
; %bb.7:
	v_mad_u32 v3, s17, v0, v1
	global_load_b32 v4, v3, s[4:5] scale_offset
.LBB11_8:
	s_wait_xcnt 0x0
	s_or_b32 exec_lo, exec_lo, s3
	v_add_nc_u32_e32 v3, 32, v0
	s_delay_alu instid0(VALU_DEP_1)
	v_cmp_gt_i32_e64 s3, s16, v3
	s_and_saveexec_b32 s6, s3
	s_cbranch_execz .LBB11_10
; %bb.9:
	v_mad_u32 v2, s17, v3, v1
	global_load_b32 v2, v2, s[4:5] scale_offset
.LBB11_10:
	s_wait_xcnt 0x0
	s_or_b32 exec_lo, exec_lo, s6
	v_mbcnt_lo_u32_b32 v5, -1, 0
	s_cmp_lt_i32 s16, 1
	s_cbranch_scc1 .LBB11_17
; %bb.11:
	s_delay_alu instid0(VALU_DEP_1) | instskip(SKIP_3) | instid1(VALU_DEP_4)
	v_dual_lshlrev_b32 v6, 2, v0 :: v_dual_bitop2_b32 v7, 16, v5 bitop3:0x14
	v_xor_b32_e32 v11, 1, v5
	v_xor_b32_e32 v10, 2, v5
	v_mul_lo_u32 v12, v0, s16
	v_cmp_gt_i32_e32 vcc_lo, 32, v7
	v_xor_b32_e32 v8, 8, v5
	s_min_i32 s4, s16, 32
	s_mov_b32 s5, 0
	s_lshl_b32 s6, s16, 2
	v_cndmask_b32_e32 v7, v5, v7, vcc_lo
	v_cmp_gt_i32_e32 vcc_lo, 32, v8
	v_xor_b32_e32 v9, 4, v5
	v_add_lshl_u32 v12, v12, v0, 2
	v_cndmask_b32_e32 v8, v5, v8, vcc_lo
	s_delay_alu instid0(VALU_DEP_3) | instskip(SKIP_2) | instid1(VALU_DEP_2)
	v_cmp_gt_i32_e32 vcc_lo, 32, v9
	v_dual_lshlrev_b32 v7, 2, v7 :: v_dual_cndmask_b32 v9, v5, v9, vcc_lo
	v_cmp_gt_i32_e32 vcc_lo, 32, v10
	v_dual_lshlrev_b32 v8, 2, v8 :: v_dual_lshlrev_b32 v9, 2, v9
	v_cndmask_b32_e32 v10, v5, v10, vcc_lo
	v_cmp_gt_i32_e32 vcc_lo, 32, v11
	s_delay_alu instid0(VALU_DEP_2) | instskip(NEXT) | instid1(VALU_DEP_1)
	v_dual_cndmask_b32 v11, v5, v11 :: v_dual_lshlrev_b32 v10, 2, v10
	v_lshlrev_b32_e32 v11, 2, v11
	s_branch .LBB11_13
.LBB11_12:                              ;   in Loop: Header=BB11_13 Depth=1
	s_or_b32 exec_lo, exec_lo, s7
	v_add_nc_u32_e32 v6, s6, v6
	s_add_co_i32 s5, s5, 1
	s_delay_alu instid0(SALU_CYCLE_1)
	s_cmp_eq_u32 s4, s5
	s_cbranch_scc1 .LBB11_17
.LBB11_13:                              ; =>This Inner Loop Header: Depth=1
	v_mov_b32_e32 v13, 0
	s_mov_b32 s7, exec_lo
	v_cmpx_gt_u32_e64 s5, v0
	s_cbranch_execz .LBB11_15
; %bb.14:                               ;   in Loop: Header=BB11_13 Depth=1
	ds_load_b32 v13, v6
	s_wait_loadcnt_dscnt 0x0
	v_fma_f32 v13, v4, v13, 0
.LBB11_15:                              ;   in Loop: Header=BB11_13 Depth=1
	s_or_b32 exec_lo, exec_lo, s7
	s_wait_dscnt 0x0
	ds_bpermute_b32 v14, v7, v13
	s_mov_b32 s7, exec_lo
	s_wait_dscnt 0x0
	v_add_f32_e32 v13, v13, v14
	ds_bpermute_b32 v14, v8, v13
	s_wait_dscnt 0x0
	v_add_f32_e32 v13, v13, v14
	ds_bpermute_b32 v14, v9, v13
	;; [unrolled: 3-line block ×4, first 2 shown]
	v_cmpx_eq_u32_e64 s5, v0
	s_cbranch_execz .LBB11_12
; %bb.16:                               ;   in Loop: Header=BB11_13 Depth=1
	ds_load_b32 v15, v12
	s_wait_dscnt 0x1
	v_add_f32_e32 v13, v13, v14
	s_wait_loadcnt 0x0
	s_delay_alu instid0(VALU_DEP_1) | instskip(SKIP_1) | instid1(VALU_DEP_1)
	v_sub_f32_e32 v4, v4, v13
	s_wait_dscnt 0x0
	v_div_scale_f32 v13, null, v15, v15, v4
	s_delay_alu instid0(VALU_DEP_1) | instskip(SKIP_1) | instid1(TRANS32_DEP_1)
	v_rcp_f32_e32 v14, v13
	v_nop
	v_fma_f32 v16, -v13, v14, 1.0
	s_delay_alu instid0(VALU_DEP_1) | instskip(SKIP_1) | instid1(VALU_DEP_1)
	v_fmac_f32_e32 v14, v16, v14
	v_div_scale_f32 v16, vcc_lo, v4, v15, v4
	v_mul_f32_e32 v17, v16, v14
	s_delay_alu instid0(VALU_DEP_1) | instskip(NEXT) | instid1(VALU_DEP_1)
	v_fma_f32 v18, -v13, v17, v16
	v_fmac_f32_e32 v17, v18, v14
	s_delay_alu instid0(VALU_DEP_1) | instskip(NEXT) | instid1(VALU_DEP_1)
	v_fma_f32 v13, -v13, v17, v16
	v_div_fmas_f32 v13, v13, v14, v17
	s_delay_alu instid0(VALU_DEP_1)
	v_div_fixup_f32 v4, v13, v15, v4
	s_branch .LBB11_12
.LBB11_17:
	s_load_b64 s[0:1], s[0:1], 0x10
	s_cmp_lt_i32 s16, 33
	s_cbranch_scc1 .LBB11_24
; %bb.18:
	v_xor_b32_e32 v7, 8, v5
	v_xor_b32_e32 v6, 16, v5
	s_lshl_b32 s6, s16, 7
	s_lshl_b32 s4, s16, 2
	s_mov_b32 s5, 32
	s_add_co_i32 s7, s4, 4
	v_cmp_gt_i32_e32 vcc_lo, 32, v6
	v_dual_cndmask_b32 v6, v5, v6, vcc_lo :: v_dual_bitop2_b32 v8, 4, v5 bitop3:0x14
	v_cmp_gt_i32_e32 vcc_lo, 32, v7
	s_delay_alu instid0(VALU_DEP_2) | instskip(NEXT) | instid1(VALU_DEP_3)
	v_dual_cndmask_b32 v7, v5, v7 :: v_dual_lshlrev_b32 v6, 2, v6
	v_cmp_gt_i32_e32 vcc_lo, 32, v8
	v_xor_b32_e32 v9, 2, v5
	v_dual_cndmask_b32 v8, v5, v8, vcc_lo :: v_dual_bitop2_b32 v10, 1, v5 bitop3:0x14
	s_delay_alu instid0(VALU_DEP_2) | instskip(SKIP_1) | instid1(VALU_DEP_3)
	v_cmp_gt_i32_e32 vcc_lo, 32, v9
	v_cndmask_b32_e32 v9, v5, v9, vcc_lo
	v_cmp_gt_i32_e32 vcc_lo, 32, v10
	v_dual_cndmask_b32 v10, v5, v10 :: v_dual_lshlrev_b32 v5, 2, v7
	s_delay_alu instid0(VALU_DEP_3) | instskip(NEXT) | instid1(VALU_DEP_2)
	v_dual_lshlrev_b32 v7, 2, v8 :: v_dual_lshlrev_b32 v8, 2, v9
	v_lshlrev_b32_e32 v9, 2, v10
	v_lshl_add_u32 v10, v0, 2, s6
	s_addk_co_i32 s6, 0x80
	s_branch .LBB11_20
.LBB11_19:                              ;   in Loop: Header=BB11_20 Depth=1
	s_or_b32 exec_lo, exec_lo, s8
	v_add_nc_u32_e32 v10, s4, v10
	s_add_co_i32 s5, s5, 33
	s_add_co_i32 s6, s6, s7
	s_cmp_eq_u32 s5, s16
	s_cbranch_scc1 .LBB11_24
.LBB11_20:                              ; =>This Inner Loop Header: Depth=1
	ds_load_b32 v11, v10
	s_mov_b32 s8, exec_lo
	s_wait_loadcnt_dscnt 0x0
	v_mul_f32_e32 v11, v4, v11
	v_cmpx_gt_u32_e64 s5, v3
	s_cbranch_execz .LBB11_22
; %bb.21:                               ;   in Loop: Header=BB11_20 Depth=1
	ds_load_b32 v12, v10 offset:128
	s_wait_dscnt 0x0
	v_fmac_f32_e32 v11, v2, v12
.LBB11_22:                              ;   in Loop: Header=BB11_20 Depth=1
	s_or_b32 exec_lo, exec_lo, s8
	ds_bpermute_b32 v12, v6, v11
	s_sub_co_i32 s5, s5, 32
	s_mov_b32 s8, exec_lo
	s_wait_dscnt 0x0
	v_add_f32_e32 v11, v11, v12
	ds_bpermute_b32 v12, v5, v11
	s_wait_dscnt 0x0
	v_add_f32_e32 v11, v11, v12
	ds_bpermute_b32 v12, v7, v11
	;; [unrolled: 3-line block ×4, first 2 shown]
	v_cmpx_eq_u32_e64 s5, v0
	s_cbranch_execz .LBB11_19
; %bb.23:                               ;   in Loop: Header=BB11_20 Depth=1
	s_wait_dscnt 0x0
	v_dual_mov_b32 v13, s6 :: v_dual_add_f32 v11, v11, v12
	ds_load_b32 v13, v13
	v_sub_f32_e32 v2, v2, v11
	s_wait_dscnt 0x0
	s_delay_alu instid0(VALU_DEP_1) | instskip(NEXT) | instid1(VALU_DEP_1)
	v_div_scale_f32 v11, null, v13, v13, v2
	v_rcp_f32_e32 v12, v11
	v_nop
	s_delay_alu instid0(TRANS32_DEP_1) | instskip(NEXT) | instid1(VALU_DEP_1)
	v_fma_f32 v14, -v11, v12, 1.0
	v_fmac_f32_e32 v12, v14, v12
	v_div_scale_f32 v14, vcc_lo, v2, v13, v2
	s_delay_alu instid0(VALU_DEP_1) | instskip(NEXT) | instid1(VALU_DEP_1)
	v_mul_f32_e32 v15, v14, v12
	v_fma_f32 v16, -v11, v15, v14
	s_delay_alu instid0(VALU_DEP_1) | instskip(NEXT) | instid1(VALU_DEP_1)
	v_fmac_f32_e32 v15, v16, v12
	v_fma_f32 v11, -v11, v15, v14
	s_delay_alu instid0(VALU_DEP_1) | instskip(NEXT) | instid1(VALU_DEP_1)
	v_div_fmas_f32 v11, v11, v12, v15
	v_div_fixup_f32 v2, v11, v13, v2
	s_branch .LBB11_19
.LBB11_24:
	s_mul_u64 s[4:5], s[12:13], s[20:21]
	s_mul_u64 s[6:7], s[14:15], s[18:19]
	s_lshl_b64 s[4:5], s[4:5], 2
	s_wait_kmcnt 0x0
	s_add_nc_u64 s[0:1], s[0:1], s[4:5]
	s_lshl_b64 s[4:5], s[6:7], 2
	s_delay_alu instid0(SALU_CYCLE_1)
	s_add_nc_u64 s[0:1], s[0:1], s[4:5]
	s_and_saveexec_b32 s4, s2
	s_cbranch_execz .LBB11_26
; %bb.25:
	v_mad_u32 v5, v0, s17, v1
	v_cmp_gt_u32_e32 vcc_lo, 32, v0
	s_wait_loadcnt 0x0
	v_cndmask_b32_e32 v0, v2, v4, vcc_lo
	global_store_b32 v5, v0, s[0:1] scale_offset
.LBB11_26:
	s_wait_xcnt 0x0
	s_or_b32 exec_lo, exec_lo, s4
	s_delay_alu instid0(SALU_CYCLE_1)
	s_and_b32 exec_lo, exec_lo, s3
	s_cbranch_execz .LBB11_28
; %bb.27:
	v_mad_u32 v0, v3, s17, v1
	s_wait_loadcnt 0x0
	global_store_b32 v0, v2, s[0:1] scale_offset
.LBB11_28:
	s_endpgm
	.section	.rodata,"a",@progbits
	.p2align	6, 0x0
	.amdhsa_kernel _ZL18solve_tri_f32_fastILi0ELi0EEvPKfS1_Pf15HIP_vector_typeIjLj3EEmmmmmmii
		.amdhsa_group_segment_fixed_size 16384
		.amdhsa_private_segment_fixed_size 0
		.amdhsa_kernarg_size 352
		.amdhsa_user_sgpr_count 2
		.amdhsa_user_sgpr_dispatch_ptr 0
		.amdhsa_user_sgpr_queue_ptr 0
		.amdhsa_user_sgpr_kernarg_segment_ptr 1
		.amdhsa_user_sgpr_dispatch_id 0
		.amdhsa_user_sgpr_kernarg_preload_length 0
		.amdhsa_user_sgpr_kernarg_preload_offset 0
		.amdhsa_user_sgpr_private_segment_size 0
		.amdhsa_wavefront_size32 1
		.amdhsa_uses_dynamic_stack 0
		.amdhsa_enable_private_segment 0
		.amdhsa_system_sgpr_workgroup_id_x 1
		.amdhsa_system_sgpr_workgroup_id_y 0
		.amdhsa_system_sgpr_workgroup_id_z 0
		.amdhsa_system_sgpr_workgroup_info 0
		.amdhsa_system_vgpr_workitem_id 1
		.amdhsa_next_free_vgpr 19
		.amdhsa_next_free_sgpr 25
		.amdhsa_named_barrier_count 0
		.amdhsa_reserve_vcc 1
		.amdhsa_float_round_mode_32 0
		.amdhsa_float_round_mode_16_64 0
		.amdhsa_float_denorm_mode_32 3
		.amdhsa_float_denorm_mode_16_64 3
		.amdhsa_fp16_overflow 0
		.amdhsa_memory_ordered 1
		.amdhsa_forward_progress 1
		.amdhsa_inst_pref_size 12
		.amdhsa_round_robin_scheduling 0
		.amdhsa_exception_fp_ieee_invalid_op 0
		.amdhsa_exception_fp_denorm_src 0
		.amdhsa_exception_fp_ieee_div_zero 0
		.amdhsa_exception_fp_ieee_overflow 0
		.amdhsa_exception_fp_ieee_underflow 0
		.amdhsa_exception_fp_ieee_inexact 0
		.amdhsa_exception_int_div_zero 0
	.end_amdhsa_kernel
	.section	.text._ZL18solve_tri_f32_fastILi0ELi0EEvPKfS1_Pf15HIP_vector_typeIjLj3EEmmmmmmii,"axG",@progbits,_ZL18solve_tri_f32_fastILi0ELi0EEvPKfS1_Pf15HIP_vector_typeIjLj3EEmmmmmmii,comdat
.Lfunc_end11:
	.size	_ZL18solve_tri_f32_fastILi0ELi0EEvPKfS1_Pf15HIP_vector_typeIjLj3EEmmmmmmii, .Lfunc_end11-_ZL18solve_tri_f32_fastILi0ELi0EEvPKfS1_Pf15HIP_vector_typeIjLj3EEmmmmmmii
                                        ; -- End function
	.set _ZL18solve_tri_f32_fastILi0ELi0EEvPKfS1_Pf15HIP_vector_typeIjLj3EEmmmmmmii.num_vgpr, 19
	.set _ZL18solve_tri_f32_fastILi0ELi0EEvPKfS1_Pf15HIP_vector_typeIjLj3EEmmmmmmii.num_agpr, 0
	.set _ZL18solve_tri_f32_fastILi0ELi0EEvPKfS1_Pf15HIP_vector_typeIjLj3EEmmmmmmii.numbered_sgpr, 25
	.set _ZL18solve_tri_f32_fastILi0ELi0EEvPKfS1_Pf15HIP_vector_typeIjLj3EEmmmmmmii.num_named_barrier, 0
	.set _ZL18solve_tri_f32_fastILi0ELi0EEvPKfS1_Pf15HIP_vector_typeIjLj3EEmmmmmmii.private_seg_size, 0
	.set _ZL18solve_tri_f32_fastILi0ELi0EEvPKfS1_Pf15HIP_vector_typeIjLj3EEmmmmmmii.uses_vcc, 1
	.set _ZL18solve_tri_f32_fastILi0ELi0EEvPKfS1_Pf15HIP_vector_typeIjLj3EEmmmmmmii.uses_flat_scratch, 0
	.set _ZL18solve_tri_f32_fastILi0ELi0EEvPKfS1_Pf15HIP_vector_typeIjLj3EEmmmmmmii.has_dyn_sized_stack, 0
	.set _ZL18solve_tri_f32_fastILi0ELi0EEvPKfS1_Pf15HIP_vector_typeIjLj3EEmmmmmmii.has_recursion, 0
	.set _ZL18solve_tri_f32_fastILi0ELi0EEvPKfS1_Pf15HIP_vector_typeIjLj3EEmmmmmmii.has_indirect_call, 0
	.section	.AMDGPU.csdata,"",@progbits
; Kernel info:
; codeLenInByte = 1500
; TotalNumSgprs: 27
; NumVgprs: 19
; ScratchSize: 0
; MemoryBound: 0
; FloatMode: 240
; IeeeMode: 1
; LDSByteSize: 16384 bytes/workgroup (compile time only)
; SGPRBlocks: 0
; VGPRBlocks: 1
; NumSGPRsForWavesPerEU: 27
; NumVGPRsForWavesPerEU: 19
; NamedBarCnt: 0
; Occupancy: 16
; WaveLimiterHint : 0
; COMPUTE_PGM_RSRC2:SCRATCH_EN: 0
; COMPUTE_PGM_RSRC2:USER_SGPR: 2
; COMPUTE_PGM_RSRC2:TRAP_HANDLER: 0
; COMPUTE_PGM_RSRC2:TGID_X_EN: 1
; COMPUTE_PGM_RSRC2:TGID_Y_EN: 0
; COMPUTE_PGM_RSRC2:TGID_Z_EN: 0
; COMPUTE_PGM_RSRC2:TIDIG_COMP_CNT: 1
	.section	.AMDGPU.gpr_maximums,"",@progbits
	.set amdgpu.max_num_vgpr, 0
	.set amdgpu.max_num_agpr, 0
	.set amdgpu.max_num_sgpr, 0
	.section	.AMDGPU.csdata,"",@progbits
	.type	__hip_cuid_746c79e038c4194c,@object ; @__hip_cuid_746c79e038c4194c
	.section	.bss,"aw",@nobits
	.globl	__hip_cuid_746c79e038c4194c
__hip_cuid_746c79e038c4194c:
	.byte	0                               ; 0x0
	.size	__hip_cuid_746c79e038c4194c, 1

	.ident	"AMD clang version 22.0.0git (https://github.com/RadeonOpenCompute/llvm-project roc-7.2.4 26084 f58b06dce1f9c15707c5f808fd002e18c2accf7e)"
	.section	".note.GNU-stack","",@progbits
	.addrsig
	.addrsig_sym __hip_cuid_746c79e038c4194c
	.amdgpu_metadata
---
amdhsa.kernels:
  - .args:
      - .address_space:  global
        .offset:         0
        .size:           8
        .value_kind:     global_buffer
      - .address_space:  global
        .offset:         8
        .size:           8
        .value_kind:     global_buffer
      - .address_space:  global
        .offset:         16
        .size:           8
        .value_kind:     global_buffer
      - .address_space:  global
        .offset:         24
        .size:           8
        .value_kind:     global_buffer
      - .offset:         32
        .size:           8
        .value_kind:     by_value
      - .offset:         40
        .size:           8
        .value_kind:     by_value
      - .offset:         48
        .size:           8
        .value_kind:     by_value
      - .offset:         56
        .size:           8
        .value_kind:     by_value
      - .offset:         64
        .size:           8
        .value_kind:     by_value
      - .offset:         72
        .size:           8
        .value_kind:     by_value
      - .offset:         80
        .size:           4
        .value_kind:     hidden_block_count_x
      - .offset:         84
        .size:           4
        .value_kind:     hidden_block_count_y
      - .offset:         88
        .size:           4
        .value_kind:     hidden_block_count_z
      - .offset:         92
        .size:           2
        .value_kind:     hidden_group_size_x
      - .offset:         94
        .size:           2
        .value_kind:     hidden_group_size_y
      - .offset:         96
        .size:           2
        .value_kind:     hidden_group_size_z
      - .offset:         98
        .size:           2
        .value_kind:     hidden_remainder_x
      - .offset:         100
        .size:           2
        .value_kind:     hidden_remainder_y
      - .offset:         102
        .size:           2
        .value_kind:     hidden_remainder_z
      - .offset:         120
        .size:           8
        .value_kind:     hidden_global_offset_x
      - .offset:         128
        .size:           8
        .value_kind:     hidden_global_offset_y
      - .offset:         136
        .size:           8
        .value_kind:     hidden_global_offset_z
      - .offset:         144
        .size:           2
        .value_kind:     hidden_grid_dims
    .group_segment_fixed_size: 0
    .kernarg_segment_align: 8
    .kernarg_segment_size: 336
    .language:       OpenCL C
    .language_version:
      - 2
      - 0
    .max_flat_workgroup_size: 1024
    .name:           _ZL18get_batch_pointersPKfPfPS0_PS1_llmmmm
    .private_segment_fixed_size: 0
    .sgpr_count:     36
    .sgpr_spill_count: 0
    .symbol:         _ZL18get_batch_pointersPKfPfPS0_PS1_llmmmm.kd
    .uniform_work_group_size: 1
    .uses_dynamic_stack: false
    .vgpr_count:     18
    .vgpr_spill_count: 0
    .wavefront_size: 32
  - .args:
      - .actual_access:  read_only
        .address_space:  global
        .offset:         0
        .size:           8
        .value_kind:     global_buffer
      - .actual_access:  read_only
        .address_space:  global
        .offset:         8
        .size:           8
        .value_kind:     global_buffer
      - .actual_access:  write_only
        .address_space:  global
        .offset:         16
        .size:           8
        .value_kind:     global_buffer
      - .offset:         24
        .size:           12
        .value_kind:     by_value
      - .offset:         40
        .size:           8
        .value_kind:     by_value
      - .offset:         48
        .size:           8
        .value_kind:     by_value
      - .offset:         56
        .size:           8
        .value_kind:     by_value
      - .offset:         64
        .size:           8
        .value_kind:     by_value
      - .offset:         72
        .size:           8
        .value_kind:     by_value
      - .offset:         80
        .size:           8
        .value_kind:     by_value
      - .offset:         88
        .size:           4
        .value_kind:     by_value
      - .offset:         92
        .size:           4
        .value_kind:     by_value
      - .offset:         96
        .size:           4
        .value_kind:     hidden_block_count_x
      - .offset:         100
        .size:           4
        .value_kind:     hidden_block_count_y
      - .offset:         104
        .size:           4
        .value_kind:     hidden_block_count_z
      - .offset:         108
        .size:           2
        .value_kind:     hidden_group_size_x
      - .offset:         110
        .size:           2
        .value_kind:     hidden_group_size_y
      - .offset:         112
        .size:           2
        .value_kind:     hidden_group_size_z
      - .offset:         114
        .size:           2
        .value_kind:     hidden_remainder_x
      - .offset:         116
        .size:           2
        .value_kind:     hidden_remainder_y
      - .offset:         118
        .size:           2
        .value_kind:     hidden_remainder_z
      - .offset:         136
        .size:           8
        .value_kind:     hidden_global_offset_x
      - .offset:         144
        .size:           8
        .value_kind:     hidden_global_offset_y
      - .offset:         152
        .size:           8
        .value_kind:     hidden_global_offset_z
      - .offset:         160
        .size:           2
        .value_kind:     hidden_grid_dims
    .group_segment_fixed_size: 16384
    .kernarg_segment_align: 8
    .kernarg_segment_size: 352
    .language:       OpenCL C
    .language_version:
      - 2
      - 0
    .max_flat_workgroup_size: 1024
    .name:           _ZL18solve_tri_f32_fastILi64ELi32EEvPKfS1_Pf15HIP_vector_typeIjLj3EEmmmmmmii
    .private_segment_fixed_size: 0
    .sgpr_count:     78
    .sgpr_spill_count: 0
    .symbol:         _ZL18solve_tri_f32_fastILi64ELi32EEvPKfS1_Pf15HIP_vector_typeIjLj3EEmmmmmmii.kd
    .uniform_work_group_size: 1
    .uses_dynamic_stack: false
    .vgpr_count:     17
    .vgpr_spill_count: 0
    .wavefront_size: 32
  - .args:
      - .actual_access:  read_only
        .address_space:  global
        .offset:         0
        .size:           8
        .value_kind:     global_buffer
      - .actual_access:  read_only
        .address_space:  global
        .offset:         8
        .size:           8
        .value_kind:     global_buffer
      - .actual_access:  write_only
        .address_space:  global
        .offset:         16
        .size:           8
        .value_kind:     global_buffer
      - .offset:         24
        .size:           12
        .value_kind:     by_value
      - .offset:         40
        .size:           8
        .value_kind:     by_value
      - .offset:         48
        .size:           8
        .value_kind:     by_value
      - .offset:         56
        .size:           8
        .value_kind:     by_value
      - .offset:         64
        .size:           8
        .value_kind:     by_value
      - .offset:         72
        .size:           8
        .value_kind:     by_value
      - .offset:         80
        .size:           8
        .value_kind:     by_value
      - .offset:         88
        .size:           4
        .value_kind:     by_value
      - .offset:         92
        .size:           4
        .value_kind:     by_value
      - .offset:         96
        .size:           4
        .value_kind:     hidden_block_count_x
      - .offset:         100
        .size:           4
        .value_kind:     hidden_block_count_y
      - .offset:         104
        .size:           4
        .value_kind:     hidden_block_count_z
      - .offset:         108
        .size:           2
        .value_kind:     hidden_group_size_x
      - .offset:         110
        .size:           2
        .value_kind:     hidden_group_size_y
      - .offset:         112
        .size:           2
        .value_kind:     hidden_group_size_z
      - .offset:         114
        .size:           2
        .value_kind:     hidden_remainder_x
      - .offset:         116
        .size:           2
        .value_kind:     hidden_remainder_y
      - .offset:         118
        .size:           2
        .value_kind:     hidden_remainder_z
      - .offset:         136
        .size:           8
        .value_kind:     hidden_global_offset_x
      - .offset:         144
        .size:           8
        .value_kind:     hidden_global_offset_y
      - .offset:         152
        .size:           8
        .value_kind:     hidden_global_offset_z
      - .offset:         160
        .size:           2
        .value_kind:     hidden_grid_dims
    .group_segment_fixed_size: 16384
    .kernarg_segment_align: 8
    .kernarg_segment_size: 352
    .language:       OpenCL C
    .language_version:
      - 2
      - 0
    .max_flat_workgroup_size: 1024
    .name:           _ZL18solve_tri_f32_fastILi64ELi16EEvPKfS1_Pf15HIP_vector_typeIjLj3EEmmmmmmii
    .private_segment_fixed_size: 0
    .sgpr_count:     78
    .sgpr_spill_count: 0
    .symbol:         _ZL18solve_tri_f32_fastILi64ELi16EEvPKfS1_Pf15HIP_vector_typeIjLj3EEmmmmmmii.kd
    .uniform_work_group_size: 1
    .uses_dynamic_stack: false
    .vgpr_count:     17
    .vgpr_spill_count: 0
    .wavefront_size: 32
  - .args:
      - .actual_access:  read_only
        .address_space:  global
        .offset:         0
        .size:           8
        .value_kind:     global_buffer
      - .actual_access:  read_only
        .address_space:  global
        .offset:         8
        .size:           8
        .value_kind:     global_buffer
      - .actual_access:  write_only
        .address_space:  global
        .offset:         16
        .size:           8
        .value_kind:     global_buffer
      - .offset:         24
        .size:           12
        .value_kind:     by_value
      - .offset:         40
        .size:           8
        .value_kind:     by_value
      - .offset:         48
        .size:           8
        .value_kind:     by_value
      - .offset:         56
        .size:           8
        .value_kind:     by_value
      - .offset:         64
        .size:           8
        .value_kind:     by_value
      - .offset:         72
        .size:           8
        .value_kind:     by_value
      - .offset:         80
        .size:           8
        .value_kind:     by_value
      - .offset:         88
        .size:           4
        .value_kind:     by_value
      - .offset:         92
        .size:           4
        .value_kind:     by_value
      - .offset:         96
        .size:           4
        .value_kind:     hidden_block_count_x
      - .offset:         100
        .size:           4
        .value_kind:     hidden_block_count_y
      - .offset:         104
        .size:           4
        .value_kind:     hidden_block_count_z
      - .offset:         108
        .size:           2
        .value_kind:     hidden_group_size_x
      - .offset:         110
        .size:           2
        .value_kind:     hidden_group_size_y
      - .offset:         112
        .size:           2
        .value_kind:     hidden_group_size_z
      - .offset:         114
        .size:           2
        .value_kind:     hidden_remainder_x
      - .offset:         116
        .size:           2
        .value_kind:     hidden_remainder_y
      - .offset:         118
        .size:           2
        .value_kind:     hidden_remainder_z
      - .offset:         136
        .size:           8
        .value_kind:     hidden_global_offset_x
      - .offset:         144
        .size:           8
        .value_kind:     hidden_global_offset_y
      - .offset:         152
        .size:           8
        .value_kind:     hidden_global_offset_z
      - .offset:         160
        .size:           2
        .value_kind:     hidden_grid_dims
    .group_segment_fixed_size: 16384
    .kernarg_segment_align: 8
    .kernarg_segment_size: 352
    .language:       OpenCL C
    .language_version:
      - 2
      - 0
    .max_flat_workgroup_size: 1024
    .name:           _ZL18solve_tri_f32_fastILi64ELi14EEvPKfS1_Pf15HIP_vector_typeIjLj3EEmmmmmmii
    .private_segment_fixed_size: 0
    .sgpr_count:     78
    .sgpr_spill_count: 0
    .symbol:         _ZL18solve_tri_f32_fastILi64ELi14EEvPKfS1_Pf15HIP_vector_typeIjLj3EEmmmmmmii.kd
    .uniform_work_group_size: 1
    .uses_dynamic_stack: false
    .vgpr_count:     17
    .vgpr_spill_count: 0
    .wavefront_size: 32
  - .args:
      - .actual_access:  read_only
        .address_space:  global
        .offset:         0
        .size:           8
        .value_kind:     global_buffer
      - .actual_access:  read_only
        .address_space:  global
        .offset:         8
        .size:           8
        .value_kind:     global_buffer
      - .actual_access:  write_only
        .address_space:  global
        .offset:         16
        .size:           8
        .value_kind:     global_buffer
      - .offset:         24
        .size:           12
        .value_kind:     by_value
      - .offset:         40
        .size:           8
        .value_kind:     by_value
      - .offset:         48
        .size:           8
        .value_kind:     by_value
      - .offset:         56
        .size:           8
        .value_kind:     by_value
      - .offset:         64
        .size:           8
        .value_kind:     by_value
      - .offset:         72
        .size:           8
        .value_kind:     by_value
      - .offset:         80
        .size:           8
        .value_kind:     by_value
      - .offset:         88
        .size:           4
        .value_kind:     by_value
      - .offset:         92
        .size:           4
        .value_kind:     by_value
      - .offset:         96
        .size:           4
        .value_kind:     hidden_block_count_x
      - .offset:         100
        .size:           4
        .value_kind:     hidden_block_count_y
      - .offset:         104
        .size:           4
        .value_kind:     hidden_block_count_z
      - .offset:         108
        .size:           2
        .value_kind:     hidden_group_size_x
      - .offset:         110
        .size:           2
        .value_kind:     hidden_group_size_y
      - .offset:         112
        .size:           2
        .value_kind:     hidden_group_size_z
      - .offset:         114
        .size:           2
        .value_kind:     hidden_remainder_x
      - .offset:         116
        .size:           2
        .value_kind:     hidden_remainder_y
      - .offset:         118
        .size:           2
        .value_kind:     hidden_remainder_z
      - .offset:         136
        .size:           8
        .value_kind:     hidden_global_offset_x
      - .offset:         144
        .size:           8
        .value_kind:     hidden_global_offset_y
      - .offset:         152
        .size:           8
        .value_kind:     hidden_global_offset_z
      - .offset:         160
        .size:           2
        .value_kind:     hidden_grid_dims
    .group_segment_fixed_size: 16384
    .kernarg_segment_align: 8
    .kernarg_segment_size: 352
    .language:       OpenCL C
    .language_version:
      - 2
      - 0
    .max_flat_workgroup_size: 1024
    .name:           _ZL18solve_tri_f32_fastILi64ELi12EEvPKfS1_Pf15HIP_vector_typeIjLj3EEmmmmmmii
    .private_segment_fixed_size: 0
    .sgpr_count:     78
    .sgpr_spill_count: 0
    .symbol:         _ZL18solve_tri_f32_fastILi64ELi12EEvPKfS1_Pf15HIP_vector_typeIjLj3EEmmmmmmii.kd
    .uniform_work_group_size: 1
    .uses_dynamic_stack: false
    .vgpr_count:     17
    .vgpr_spill_count: 0
    .wavefront_size: 32
  - .args:
      - .actual_access:  read_only
        .address_space:  global
        .offset:         0
        .size:           8
        .value_kind:     global_buffer
      - .actual_access:  read_only
        .address_space:  global
        .offset:         8
        .size:           8
        .value_kind:     global_buffer
      - .actual_access:  write_only
        .address_space:  global
        .offset:         16
        .size:           8
        .value_kind:     global_buffer
      - .offset:         24
        .size:           12
        .value_kind:     by_value
      - .offset:         40
        .size:           8
        .value_kind:     by_value
      - .offset:         48
        .size:           8
        .value_kind:     by_value
      - .offset:         56
        .size:           8
        .value_kind:     by_value
      - .offset:         64
        .size:           8
        .value_kind:     by_value
      - .offset:         72
        .size:           8
        .value_kind:     by_value
      - .offset:         80
        .size:           8
        .value_kind:     by_value
      - .offset:         88
        .size:           4
        .value_kind:     by_value
      - .offset:         92
        .size:           4
        .value_kind:     by_value
      - .offset:         96
        .size:           4
        .value_kind:     hidden_block_count_x
      - .offset:         100
        .size:           4
        .value_kind:     hidden_block_count_y
      - .offset:         104
        .size:           4
        .value_kind:     hidden_block_count_z
      - .offset:         108
        .size:           2
        .value_kind:     hidden_group_size_x
      - .offset:         110
        .size:           2
        .value_kind:     hidden_group_size_y
      - .offset:         112
        .size:           2
        .value_kind:     hidden_group_size_z
      - .offset:         114
        .size:           2
        .value_kind:     hidden_remainder_x
      - .offset:         116
        .size:           2
        .value_kind:     hidden_remainder_y
      - .offset:         118
        .size:           2
        .value_kind:     hidden_remainder_z
      - .offset:         136
        .size:           8
        .value_kind:     hidden_global_offset_x
      - .offset:         144
        .size:           8
        .value_kind:     hidden_global_offset_y
      - .offset:         152
        .size:           8
        .value_kind:     hidden_global_offset_z
      - .offset:         160
        .size:           2
        .value_kind:     hidden_grid_dims
    .group_segment_fixed_size: 16384
    .kernarg_segment_align: 8
    .kernarg_segment_size: 352
    .language:       OpenCL C
    .language_version:
      - 2
      - 0
    .max_flat_workgroup_size: 1024
    .name:           _ZL18solve_tri_f32_fastILi64ELi10EEvPKfS1_Pf15HIP_vector_typeIjLj3EEmmmmmmii
    .private_segment_fixed_size: 0
    .sgpr_count:     78
    .sgpr_spill_count: 0
    .symbol:         _ZL18solve_tri_f32_fastILi64ELi10EEvPKfS1_Pf15HIP_vector_typeIjLj3EEmmmmmmii.kd
    .uniform_work_group_size: 1
    .uses_dynamic_stack: false
    .vgpr_count:     17
    .vgpr_spill_count: 0
    .wavefront_size: 32
  - .args:
      - .actual_access:  read_only
        .address_space:  global
        .offset:         0
        .size:           8
        .value_kind:     global_buffer
      - .actual_access:  read_only
        .address_space:  global
        .offset:         8
        .size:           8
        .value_kind:     global_buffer
      - .actual_access:  write_only
        .address_space:  global
        .offset:         16
        .size:           8
        .value_kind:     global_buffer
      - .offset:         24
        .size:           12
        .value_kind:     by_value
      - .offset:         40
        .size:           8
        .value_kind:     by_value
      - .offset:         48
        .size:           8
        .value_kind:     by_value
      - .offset:         56
        .size:           8
        .value_kind:     by_value
      - .offset:         64
        .size:           8
        .value_kind:     by_value
      - .offset:         72
        .size:           8
        .value_kind:     by_value
      - .offset:         80
        .size:           8
        .value_kind:     by_value
      - .offset:         88
        .size:           4
        .value_kind:     by_value
      - .offset:         92
        .size:           4
        .value_kind:     by_value
      - .offset:         96
        .size:           4
        .value_kind:     hidden_block_count_x
      - .offset:         100
        .size:           4
        .value_kind:     hidden_block_count_y
      - .offset:         104
        .size:           4
        .value_kind:     hidden_block_count_z
      - .offset:         108
        .size:           2
        .value_kind:     hidden_group_size_x
      - .offset:         110
        .size:           2
        .value_kind:     hidden_group_size_y
      - .offset:         112
        .size:           2
        .value_kind:     hidden_group_size_z
      - .offset:         114
        .size:           2
        .value_kind:     hidden_remainder_x
      - .offset:         116
        .size:           2
        .value_kind:     hidden_remainder_y
      - .offset:         118
        .size:           2
        .value_kind:     hidden_remainder_z
      - .offset:         136
        .size:           8
        .value_kind:     hidden_global_offset_x
      - .offset:         144
        .size:           8
        .value_kind:     hidden_global_offset_y
      - .offset:         152
        .size:           8
        .value_kind:     hidden_global_offset_z
      - .offset:         160
        .size:           2
        .value_kind:     hidden_grid_dims
    .group_segment_fixed_size: 16384
    .kernarg_segment_align: 8
    .kernarg_segment_size: 352
    .language:       OpenCL C
    .language_version:
      - 2
      - 0
    .max_flat_workgroup_size: 1024
    .name:           _ZL18solve_tri_f32_fastILi64ELi8EEvPKfS1_Pf15HIP_vector_typeIjLj3EEmmmmmmii
    .private_segment_fixed_size: 0
    .sgpr_count:     78
    .sgpr_spill_count: 0
    .symbol:         _ZL18solve_tri_f32_fastILi64ELi8EEvPKfS1_Pf15HIP_vector_typeIjLj3EEmmmmmmii.kd
    .uniform_work_group_size: 1
    .uses_dynamic_stack: false
    .vgpr_count:     17
    .vgpr_spill_count: 0
    .wavefront_size: 32
  - .args:
      - .actual_access:  read_only
        .address_space:  global
        .offset:         0
        .size:           8
        .value_kind:     global_buffer
      - .actual_access:  read_only
        .address_space:  global
        .offset:         8
        .size:           8
        .value_kind:     global_buffer
      - .actual_access:  write_only
        .address_space:  global
        .offset:         16
        .size:           8
        .value_kind:     global_buffer
      - .offset:         24
        .size:           12
        .value_kind:     by_value
      - .offset:         40
        .size:           8
        .value_kind:     by_value
      - .offset:         48
        .size:           8
        .value_kind:     by_value
      - .offset:         56
        .size:           8
        .value_kind:     by_value
      - .offset:         64
        .size:           8
        .value_kind:     by_value
      - .offset:         72
        .size:           8
        .value_kind:     by_value
      - .offset:         80
        .size:           8
        .value_kind:     by_value
      - .offset:         88
        .size:           4
        .value_kind:     by_value
      - .offset:         92
        .size:           4
        .value_kind:     by_value
      - .offset:         96
        .size:           4
        .value_kind:     hidden_block_count_x
      - .offset:         100
        .size:           4
        .value_kind:     hidden_block_count_y
      - .offset:         104
        .size:           4
        .value_kind:     hidden_block_count_z
      - .offset:         108
        .size:           2
        .value_kind:     hidden_group_size_x
      - .offset:         110
        .size:           2
        .value_kind:     hidden_group_size_y
      - .offset:         112
        .size:           2
        .value_kind:     hidden_group_size_z
      - .offset:         114
        .size:           2
        .value_kind:     hidden_remainder_x
      - .offset:         116
        .size:           2
        .value_kind:     hidden_remainder_y
      - .offset:         118
        .size:           2
        .value_kind:     hidden_remainder_z
      - .offset:         136
        .size:           8
        .value_kind:     hidden_global_offset_x
      - .offset:         144
        .size:           8
        .value_kind:     hidden_global_offset_y
      - .offset:         152
        .size:           8
        .value_kind:     hidden_global_offset_z
      - .offset:         160
        .size:           2
        .value_kind:     hidden_grid_dims
    .group_segment_fixed_size: 16384
    .kernarg_segment_align: 8
    .kernarg_segment_size: 352
    .language:       OpenCL C
    .language_version:
      - 2
      - 0
    .max_flat_workgroup_size: 1024
    .name:           _ZL18solve_tri_f32_fastILi64ELi6EEvPKfS1_Pf15HIP_vector_typeIjLj3EEmmmmmmii
    .private_segment_fixed_size: 0
    .sgpr_count:     78
    .sgpr_spill_count: 0
    .symbol:         _ZL18solve_tri_f32_fastILi64ELi6EEvPKfS1_Pf15HIP_vector_typeIjLj3EEmmmmmmii.kd
    .uniform_work_group_size: 1
    .uses_dynamic_stack: false
    .vgpr_count:     17
    .vgpr_spill_count: 0
    .wavefront_size: 32
  - .args:
      - .actual_access:  read_only
        .address_space:  global
        .offset:         0
        .size:           8
        .value_kind:     global_buffer
      - .actual_access:  read_only
        .address_space:  global
        .offset:         8
        .size:           8
        .value_kind:     global_buffer
      - .actual_access:  write_only
        .address_space:  global
        .offset:         16
        .size:           8
        .value_kind:     global_buffer
      - .offset:         24
        .size:           12
        .value_kind:     by_value
      - .offset:         40
        .size:           8
        .value_kind:     by_value
      - .offset:         48
        .size:           8
        .value_kind:     by_value
      - .offset:         56
        .size:           8
        .value_kind:     by_value
      - .offset:         64
        .size:           8
        .value_kind:     by_value
      - .offset:         72
        .size:           8
        .value_kind:     by_value
      - .offset:         80
        .size:           8
        .value_kind:     by_value
      - .offset:         88
        .size:           4
        .value_kind:     by_value
      - .offset:         92
        .size:           4
        .value_kind:     by_value
      - .offset:         96
        .size:           4
        .value_kind:     hidden_block_count_x
      - .offset:         100
        .size:           4
        .value_kind:     hidden_block_count_y
      - .offset:         104
        .size:           4
        .value_kind:     hidden_block_count_z
      - .offset:         108
        .size:           2
        .value_kind:     hidden_group_size_x
      - .offset:         110
        .size:           2
        .value_kind:     hidden_group_size_y
      - .offset:         112
        .size:           2
        .value_kind:     hidden_group_size_z
      - .offset:         114
        .size:           2
        .value_kind:     hidden_remainder_x
      - .offset:         116
        .size:           2
        .value_kind:     hidden_remainder_y
      - .offset:         118
        .size:           2
        .value_kind:     hidden_remainder_z
      - .offset:         136
        .size:           8
        .value_kind:     hidden_global_offset_x
      - .offset:         144
        .size:           8
        .value_kind:     hidden_global_offset_y
      - .offset:         152
        .size:           8
        .value_kind:     hidden_global_offset_z
      - .offset:         160
        .size:           2
        .value_kind:     hidden_grid_dims
    .group_segment_fixed_size: 16384
    .kernarg_segment_align: 8
    .kernarg_segment_size: 352
    .language:       OpenCL C
    .language_version:
      - 2
      - 0
    .max_flat_workgroup_size: 1024
    .name:           _ZL18solve_tri_f32_fastILi64ELi4EEvPKfS1_Pf15HIP_vector_typeIjLj3EEmmmmmmii
    .private_segment_fixed_size: 0
    .sgpr_count:     78
    .sgpr_spill_count: 0
    .symbol:         _ZL18solve_tri_f32_fastILi64ELi4EEvPKfS1_Pf15HIP_vector_typeIjLj3EEmmmmmmii.kd
    .uniform_work_group_size: 1
    .uses_dynamic_stack: false
    .vgpr_count:     17
    .vgpr_spill_count: 0
    .wavefront_size: 32
  - .args:
      - .actual_access:  read_only
        .address_space:  global
        .offset:         0
        .size:           8
        .value_kind:     global_buffer
      - .actual_access:  read_only
        .address_space:  global
        .offset:         8
        .size:           8
        .value_kind:     global_buffer
      - .actual_access:  write_only
        .address_space:  global
        .offset:         16
        .size:           8
        .value_kind:     global_buffer
      - .offset:         24
        .size:           12
        .value_kind:     by_value
      - .offset:         40
        .size:           8
        .value_kind:     by_value
      - .offset:         48
        .size:           8
        .value_kind:     by_value
      - .offset:         56
        .size:           8
        .value_kind:     by_value
      - .offset:         64
        .size:           8
        .value_kind:     by_value
      - .offset:         72
        .size:           8
        .value_kind:     by_value
      - .offset:         80
        .size:           8
        .value_kind:     by_value
      - .offset:         88
        .size:           4
        .value_kind:     by_value
      - .offset:         92
        .size:           4
        .value_kind:     by_value
      - .offset:         96
        .size:           4
        .value_kind:     hidden_block_count_x
      - .offset:         100
        .size:           4
        .value_kind:     hidden_block_count_y
      - .offset:         104
        .size:           4
        .value_kind:     hidden_block_count_z
      - .offset:         108
        .size:           2
        .value_kind:     hidden_group_size_x
      - .offset:         110
        .size:           2
        .value_kind:     hidden_group_size_y
      - .offset:         112
        .size:           2
        .value_kind:     hidden_group_size_z
      - .offset:         114
        .size:           2
        .value_kind:     hidden_remainder_x
      - .offset:         116
        .size:           2
        .value_kind:     hidden_remainder_y
      - .offset:         118
        .size:           2
        .value_kind:     hidden_remainder_z
      - .offset:         136
        .size:           8
        .value_kind:     hidden_global_offset_x
      - .offset:         144
        .size:           8
        .value_kind:     hidden_global_offset_y
      - .offset:         152
        .size:           8
        .value_kind:     hidden_global_offset_z
      - .offset:         160
        .size:           2
        .value_kind:     hidden_grid_dims
    .group_segment_fixed_size: 16384
    .kernarg_segment_align: 8
    .kernarg_segment_size: 352
    .language:       OpenCL C
    .language_version:
      - 2
      - 0
    .max_flat_workgroup_size: 1024
    .name:           _ZL18solve_tri_f32_fastILi64ELi2EEvPKfS1_Pf15HIP_vector_typeIjLj3EEmmmmmmii
    .private_segment_fixed_size: 0
    .sgpr_count:     78
    .sgpr_spill_count: 0
    .symbol:         _ZL18solve_tri_f32_fastILi64ELi2EEvPKfS1_Pf15HIP_vector_typeIjLj3EEmmmmmmii.kd
    .uniform_work_group_size: 1
    .uses_dynamic_stack: false
    .vgpr_count:     17
    .vgpr_spill_count: 0
    .wavefront_size: 32
  - .args:
      - .actual_access:  read_only
        .address_space:  global
        .offset:         0
        .size:           8
        .value_kind:     global_buffer
      - .actual_access:  read_only
        .address_space:  global
        .offset:         8
        .size:           8
        .value_kind:     global_buffer
      - .actual_access:  write_only
        .address_space:  global
        .offset:         16
        .size:           8
        .value_kind:     global_buffer
      - .offset:         24
        .size:           12
        .value_kind:     by_value
      - .offset:         40
        .size:           8
        .value_kind:     by_value
      - .offset:         48
        .size:           8
        .value_kind:     by_value
      - .offset:         56
        .size:           8
        .value_kind:     by_value
      - .offset:         64
        .size:           8
        .value_kind:     by_value
      - .offset:         72
        .size:           8
        .value_kind:     by_value
      - .offset:         80
        .size:           8
        .value_kind:     by_value
      - .offset:         88
        .size:           4
        .value_kind:     by_value
      - .offset:         92
        .size:           4
        .value_kind:     by_value
    .group_segment_fixed_size: 16384
    .kernarg_segment_align: 8
    .kernarg_segment_size: 96
    .language:       OpenCL C
    .language_version:
      - 2
      - 0
    .max_flat_workgroup_size: 1024
    .name:           _ZL18solve_tri_f32_fastILi64ELi1EEvPKfS1_Pf15HIP_vector_typeIjLj3EEmmmmmmii
    .private_segment_fixed_size: 0
    .sgpr_count:     78
    .sgpr_spill_count: 0
    .symbol:         _ZL18solve_tri_f32_fastILi64ELi1EEvPKfS1_Pf15HIP_vector_typeIjLj3EEmmmmmmii.kd
    .uniform_work_group_size: 1
    .uses_dynamic_stack: false
    .vgpr_count:     62
    .vgpr_spill_count: 0
    .wavefront_size: 32
  - .args:
      - .actual_access:  read_only
        .address_space:  global
        .offset:         0
        .size:           8
        .value_kind:     global_buffer
      - .actual_access:  read_only
        .address_space:  global
        .offset:         8
        .size:           8
        .value_kind:     global_buffer
      - .actual_access:  write_only
        .address_space:  global
        .offset:         16
        .size:           8
        .value_kind:     global_buffer
      - .offset:         24
        .size:           12
        .value_kind:     by_value
      - .offset:         40
        .size:           8
        .value_kind:     by_value
      - .offset:         48
        .size:           8
        .value_kind:     by_value
      - .offset:         56
        .size:           8
        .value_kind:     by_value
      - .offset:         64
        .size:           8
        .value_kind:     by_value
      - .offset:         72
        .size:           8
        .value_kind:     by_value
      - .offset:         80
        .size:           8
        .value_kind:     by_value
      - .offset:         88
        .size:           4
        .value_kind:     by_value
      - .offset:         92
        .size:           4
        .value_kind:     by_value
      - .offset:         96
        .size:           4
        .value_kind:     hidden_block_count_x
      - .offset:         100
        .size:           4
        .value_kind:     hidden_block_count_y
      - .offset:         104
        .size:           4
        .value_kind:     hidden_block_count_z
      - .offset:         108
        .size:           2
        .value_kind:     hidden_group_size_x
      - .offset:         110
        .size:           2
        .value_kind:     hidden_group_size_y
      - .offset:         112
        .size:           2
        .value_kind:     hidden_group_size_z
      - .offset:         114
        .size:           2
        .value_kind:     hidden_remainder_x
      - .offset:         116
        .size:           2
        .value_kind:     hidden_remainder_y
      - .offset:         118
        .size:           2
        .value_kind:     hidden_remainder_z
      - .offset:         136
        .size:           8
        .value_kind:     hidden_global_offset_x
      - .offset:         144
        .size:           8
        .value_kind:     hidden_global_offset_y
      - .offset:         152
        .size:           8
        .value_kind:     hidden_global_offset_z
      - .offset:         160
        .size:           2
        .value_kind:     hidden_grid_dims
    .group_segment_fixed_size: 16384
    .kernarg_segment_align: 8
    .kernarg_segment_size: 352
    .language:       OpenCL C
    .language_version:
      - 2
      - 0
    .max_flat_workgroup_size: 1024
    .name:           _ZL18solve_tri_f32_fastILi0ELi0EEvPKfS1_Pf15HIP_vector_typeIjLj3EEmmmmmmii
    .private_segment_fixed_size: 0
    .sgpr_count:     27
    .sgpr_spill_count: 0
    .symbol:         _ZL18solve_tri_f32_fastILi0ELi0EEvPKfS1_Pf15HIP_vector_typeIjLj3EEmmmmmmii.kd
    .uniform_work_group_size: 1
    .uses_dynamic_stack: false
    .vgpr_count:     19
    .vgpr_spill_count: 0
    .wavefront_size: 32
amdhsa.target:   amdgcn-amd-amdhsa--gfx1250
amdhsa.version:
  - 1
  - 2
...

	.end_amdgpu_metadata
